;; amdgpu-corpus repo=ROCm/rocFFT kind=compiled arch=gfx1201 opt=O3
	.text
	.amdgcn_target "amdgcn-amd-amdhsa--gfx1201"
	.amdhsa_code_object_version 6
	.protected	fft_rtc_back_len408_factors_17_3_8_wgs_51_tpt_17_halfLds_sp_ip_CI_unitstride_sbrr_C2R_dirReg ; -- Begin function fft_rtc_back_len408_factors_17_3_8_wgs_51_tpt_17_halfLds_sp_ip_CI_unitstride_sbrr_C2R_dirReg
	.globl	fft_rtc_back_len408_factors_17_3_8_wgs_51_tpt_17_halfLds_sp_ip_CI_unitstride_sbrr_C2R_dirReg
	.p2align	8
	.type	fft_rtc_back_len408_factors_17_3_8_wgs_51_tpt_17_halfLds_sp_ip_CI_unitstride_sbrr_C2R_dirReg,@function
fft_rtc_back_len408_factors_17_3_8_wgs_51_tpt_17_halfLds_sp_ip_CI_unitstride_sbrr_C2R_dirReg: ; @fft_rtc_back_len408_factors_17_3_8_wgs_51_tpt_17_halfLds_sp_ip_CI_unitstride_sbrr_C2R_dirReg
; %bb.0:
	s_load_b128 s[4:7], s[0:1], 0x0
	v_mul_u32_u24_e32 v1, 0xf10, v0
	s_clause 0x1
	s_load_b64 s[8:9], s[0:1], 0x50
	s_load_b64 s[10:11], s[0:1], 0x18
	v_mov_b32_e32 v5, 0
	v_lshrrev_b32_e32 v1, 16, v1
	s_delay_alu instid0(VALU_DEP_1) | instskip(SKIP_3) | instid1(VALU_DEP_1)
	v_mad_co_u64_u32 v[1:2], null, ttmp9, 3, v[1:2]
	v_mov_b32_e32 v3, 0
	v_mov_b32_e32 v4, 0
	;; [unrolled: 1-line block ×4, first 2 shown]
	s_wait_kmcnt 0x0
	v_cmp_lt_u64_e64 s2, s[6:7], 2
	v_mov_b32_e32 v9, v1
	s_delay_alu instid0(VALU_DEP_2)
	s_and_b32 vcc_lo, exec_lo, s2
	s_cbranch_vccnz .LBB0_8
; %bb.1:
	s_load_b64 s[2:3], s[0:1], 0x10
	v_dual_mov_b32 v3, 0 :: v_dual_mov_b32 v8, v2
	v_dual_mov_b32 v4, 0 :: v_dual_mov_b32 v7, v1
	s_add_nc_u64 s[12:13], s[10:11], 8
	s_mov_b64 s[14:15], 1
	s_wait_kmcnt 0x0
	s_add_nc_u64 s[16:17], s[2:3], 8
	s_mov_b32 s3, 0
.LBB0_2:                                ; =>This Inner Loop Header: Depth=1
	s_load_b64 s[18:19], s[16:17], 0x0
                                        ; implicit-def: $vgpr9_vgpr10
	s_mov_b32 s2, exec_lo
	s_wait_kmcnt 0x0
	v_or_b32_e32 v6, s19, v8
	s_delay_alu instid0(VALU_DEP_1)
	v_cmpx_ne_u64_e32 0, v[5:6]
	s_wait_alu 0xfffe
	s_xor_b32 s20, exec_lo, s2
	s_cbranch_execz .LBB0_4
; %bb.3:                                ;   in Loop: Header=BB0_2 Depth=1
	s_cvt_f32_u32 s2, s18
	s_cvt_f32_u32 s21, s19
	s_sub_nc_u64 s[24:25], 0, s[18:19]
	s_wait_alu 0xfffe
	s_delay_alu instid0(SALU_CYCLE_1) | instskip(SKIP_1) | instid1(SALU_CYCLE_2)
	s_fmamk_f32 s2, s21, 0x4f800000, s2
	s_wait_alu 0xfffe
	v_s_rcp_f32 s2, s2
	s_delay_alu instid0(TRANS32_DEP_1) | instskip(SKIP_1) | instid1(SALU_CYCLE_2)
	s_mul_f32 s2, s2, 0x5f7ffffc
	s_wait_alu 0xfffe
	s_mul_f32 s21, s2, 0x2f800000
	s_wait_alu 0xfffe
	s_delay_alu instid0(SALU_CYCLE_2) | instskip(SKIP_1) | instid1(SALU_CYCLE_2)
	s_trunc_f32 s21, s21
	s_wait_alu 0xfffe
	s_fmamk_f32 s2, s21, 0xcf800000, s2
	s_cvt_u32_f32 s23, s21
	s_wait_alu 0xfffe
	s_delay_alu instid0(SALU_CYCLE_1) | instskip(SKIP_1) | instid1(SALU_CYCLE_2)
	s_cvt_u32_f32 s22, s2
	s_wait_alu 0xfffe
	s_mul_u64 s[26:27], s[24:25], s[22:23]
	s_wait_alu 0xfffe
	s_mul_hi_u32 s29, s22, s27
	s_mul_i32 s28, s22, s27
	s_mul_hi_u32 s2, s22, s26
	s_mul_i32 s30, s23, s26
	s_wait_alu 0xfffe
	s_add_nc_u64 s[28:29], s[2:3], s[28:29]
	s_mul_hi_u32 s21, s23, s26
	s_mul_hi_u32 s31, s23, s27
	s_add_co_u32 s2, s28, s30
	s_wait_alu 0xfffe
	s_add_co_ci_u32 s2, s29, s21
	s_mul_i32 s26, s23, s27
	s_add_co_ci_u32 s27, s31, 0
	s_wait_alu 0xfffe
	s_add_nc_u64 s[26:27], s[2:3], s[26:27]
	s_wait_alu 0xfffe
	v_add_co_u32 v2, s2, s22, s26
	s_delay_alu instid0(VALU_DEP_1) | instskip(SKIP_1) | instid1(VALU_DEP_1)
	s_cmp_lg_u32 s2, 0
	s_add_co_ci_u32 s23, s23, s27
	v_readfirstlane_b32 s22, v2
	s_wait_alu 0xfffe
	s_delay_alu instid0(VALU_DEP_1)
	s_mul_u64 s[24:25], s[24:25], s[22:23]
	s_wait_alu 0xfffe
	s_mul_hi_u32 s27, s22, s25
	s_mul_i32 s26, s22, s25
	s_mul_hi_u32 s2, s22, s24
	s_mul_i32 s28, s23, s24
	s_wait_alu 0xfffe
	s_add_nc_u64 s[26:27], s[2:3], s[26:27]
	s_mul_hi_u32 s21, s23, s24
	s_mul_hi_u32 s22, s23, s25
	s_wait_alu 0xfffe
	s_add_co_u32 s2, s26, s28
	s_add_co_ci_u32 s2, s27, s21
	s_mul_i32 s24, s23, s25
	s_add_co_ci_u32 s25, s22, 0
	s_wait_alu 0xfffe
	s_add_nc_u64 s[24:25], s[2:3], s[24:25]
	s_wait_alu 0xfffe
	v_add_co_u32 v2, s2, v2, s24
	s_delay_alu instid0(VALU_DEP_1) | instskip(SKIP_1) | instid1(VALU_DEP_1)
	s_cmp_lg_u32 s2, 0
	s_add_co_ci_u32 s2, s23, s25
	v_mul_hi_u32 v6, v7, v2
	s_wait_alu 0xfffe
	v_mad_co_u64_u32 v[9:10], null, v7, s2, 0
	v_mad_co_u64_u32 v[11:12], null, v8, v2, 0
	;; [unrolled: 1-line block ×3, first 2 shown]
	s_delay_alu instid0(VALU_DEP_3) | instskip(SKIP_1) | instid1(VALU_DEP_4)
	v_add_co_u32 v2, vcc_lo, v6, v9
	s_wait_alu 0xfffd
	v_add_co_ci_u32_e32 v6, vcc_lo, 0, v10, vcc_lo
	s_delay_alu instid0(VALU_DEP_2) | instskip(SKIP_1) | instid1(VALU_DEP_2)
	v_add_co_u32 v2, vcc_lo, v2, v11
	s_wait_alu 0xfffd
	v_add_co_ci_u32_e32 v2, vcc_lo, v6, v12, vcc_lo
	s_wait_alu 0xfffd
	v_add_co_ci_u32_e32 v6, vcc_lo, 0, v14, vcc_lo
	s_delay_alu instid0(VALU_DEP_2) | instskip(SKIP_1) | instid1(VALU_DEP_2)
	v_add_co_u32 v2, vcc_lo, v2, v13
	s_wait_alu 0xfffd
	v_add_co_ci_u32_e32 v6, vcc_lo, 0, v6, vcc_lo
	s_delay_alu instid0(VALU_DEP_2) | instskip(SKIP_1) | instid1(VALU_DEP_3)
	v_mul_lo_u32 v11, s19, v2
	v_mad_co_u64_u32 v[9:10], null, s18, v2, 0
	v_mul_lo_u32 v12, s18, v6
	s_delay_alu instid0(VALU_DEP_2) | instskip(NEXT) | instid1(VALU_DEP_2)
	v_sub_co_u32 v9, vcc_lo, v7, v9
	v_add3_u32 v10, v10, v12, v11
	s_delay_alu instid0(VALU_DEP_1) | instskip(SKIP_1) | instid1(VALU_DEP_1)
	v_sub_nc_u32_e32 v11, v8, v10
	s_wait_alu 0xfffd
	v_subrev_co_ci_u32_e64 v11, s2, s19, v11, vcc_lo
	v_add_co_u32 v12, s2, v2, 2
	s_wait_alu 0xf1ff
	v_add_co_ci_u32_e64 v13, s2, 0, v6, s2
	v_sub_co_u32 v14, s2, v9, s18
	v_sub_co_ci_u32_e32 v10, vcc_lo, v8, v10, vcc_lo
	s_wait_alu 0xf1ff
	v_subrev_co_ci_u32_e64 v11, s2, 0, v11, s2
	s_delay_alu instid0(VALU_DEP_3) | instskip(NEXT) | instid1(VALU_DEP_3)
	v_cmp_le_u32_e32 vcc_lo, s18, v14
	v_cmp_eq_u32_e64 s2, s19, v10
	s_wait_alu 0xfffd
	v_cndmask_b32_e64 v14, 0, -1, vcc_lo
	v_cmp_le_u32_e32 vcc_lo, s19, v11
	s_wait_alu 0xfffd
	v_cndmask_b32_e64 v15, 0, -1, vcc_lo
	v_cmp_le_u32_e32 vcc_lo, s18, v9
	;; [unrolled: 3-line block ×3, first 2 shown]
	s_wait_alu 0xfffd
	v_cndmask_b32_e64 v16, 0, -1, vcc_lo
	v_cmp_eq_u32_e32 vcc_lo, s19, v11
	s_wait_alu 0xf1ff
	s_delay_alu instid0(VALU_DEP_2)
	v_cndmask_b32_e64 v9, v16, v9, s2
	s_wait_alu 0xfffd
	v_cndmask_b32_e32 v11, v15, v14, vcc_lo
	v_add_co_u32 v14, vcc_lo, v2, 1
	s_wait_alu 0xfffd
	v_add_co_ci_u32_e32 v15, vcc_lo, 0, v6, vcc_lo
	s_delay_alu instid0(VALU_DEP_3) | instskip(SKIP_1) | instid1(VALU_DEP_2)
	v_cmp_ne_u32_e32 vcc_lo, 0, v11
	s_wait_alu 0xfffd
	v_dual_cndmask_b32 v10, v15, v13 :: v_dual_cndmask_b32 v11, v14, v12
	v_cmp_ne_u32_e32 vcc_lo, 0, v9
	s_wait_alu 0xfffd
	s_delay_alu instid0(VALU_DEP_2) | instskip(NEXT) | instid1(VALU_DEP_3)
	v_cndmask_b32_e32 v10, v6, v10, vcc_lo
	v_cndmask_b32_e32 v9, v2, v11, vcc_lo
.LBB0_4:                                ;   in Loop: Header=BB0_2 Depth=1
	s_wait_alu 0xfffe
	s_and_not1_saveexec_b32 s2, s20
	s_cbranch_execz .LBB0_6
; %bb.5:                                ;   in Loop: Header=BB0_2 Depth=1
	v_cvt_f32_u32_e32 v2, s18
	s_sub_co_i32 s20, 0, s18
	s_delay_alu instid0(VALU_DEP_1) | instskip(NEXT) | instid1(TRANS32_DEP_1)
	v_rcp_iflag_f32_e32 v2, v2
	v_mul_f32_e32 v2, 0x4f7ffffe, v2
	s_delay_alu instid0(VALU_DEP_1) | instskip(SKIP_1) | instid1(VALU_DEP_1)
	v_cvt_u32_f32_e32 v2, v2
	s_wait_alu 0xfffe
	v_mul_lo_u32 v6, s20, v2
	s_delay_alu instid0(VALU_DEP_1) | instskip(NEXT) | instid1(VALU_DEP_1)
	v_mul_hi_u32 v6, v2, v6
	v_add_nc_u32_e32 v2, v2, v6
	s_delay_alu instid0(VALU_DEP_1) | instskip(NEXT) | instid1(VALU_DEP_1)
	v_mul_hi_u32 v2, v7, v2
	v_mul_lo_u32 v6, v2, s18
	v_add_nc_u32_e32 v9, 1, v2
	s_delay_alu instid0(VALU_DEP_2) | instskip(NEXT) | instid1(VALU_DEP_1)
	v_sub_nc_u32_e32 v6, v7, v6
	v_subrev_nc_u32_e32 v10, s18, v6
	v_cmp_le_u32_e32 vcc_lo, s18, v6
	s_wait_alu 0xfffd
	s_delay_alu instid0(VALU_DEP_2) | instskip(SKIP_2) | instid1(VALU_DEP_3)
	v_cndmask_b32_e32 v6, v6, v10, vcc_lo
	v_mov_b32_e32 v10, v5
	v_cndmask_b32_e32 v2, v2, v9, vcc_lo
	v_cmp_le_u32_e32 vcc_lo, s18, v6
	s_delay_alu instid0(VALU_DEP_2) | instskip(SKIP_1) | instid1(VALU_DEP_1)
	v_add_nc_u32_e32 v9, 1, v2
	s_wait_alu 0xfffd
	v_cndmask_b32_e32 v9, v2, v9, vcc_lo
.LBB0_6:                                ;   in Loop: Header=BB0_2 Depth=1
	s_wait_alu 0xfffe
	s_or_b32 exec_lo, exec_lo, s2
	s_load_b64 s[20:21], s[12:13], 0x0
	v_mul_lo_u32 v2, v10, s18
	v_mul_lo_u32 v6, v9, s19
	v_mad_co_u64_u32 v[11:12], null, v9, s18, 0
	s_add_nc_u64 s[14:15], s[14:15], 1
	s_add_nc_u64 s[12:13], s[12:13], 8
	s_wait_alu 0xfffe
	v_cmp_ge_u64_e64 s2, s[14:15], s[6:7]
	s_add_nc_u64 s[16:17], s[16:17], 8
	s_delay_alu instid0(VALU_DEP_2) | instskip(NEXT) | instid1(VALU_DEP_3)
	v_add3_u32 v2, v12, v6, v2
	v_sub_co_u32 v6, vcc_lo, v7, v11
	s_wait_alu 0xfffd
	s_delay_alu instid0(VALU_DEP_2) | instskip(SKIP_3) | instid1(VALU_DEP_2)
	v_sub_co_ci_u32_e32 v2, vcc_lo, v8, v2, vcc_lo
	s_and_b32 vcc_lo, exec_lo, s2
	s_wait_kmcnt 0x0
	v_mul_lo_u32 v7, s21, v6
	v_mul_lo_u32 v2, s20, v2
	v_mad_co_u64_u32 v[3:4], null, s20, v6, v[3:4]
	s_delay_alu instid0(VALU_DEP_1)
	v_add3_u32 v4, v7, v4, v2
	s_wait_alu 0xfffe
	s_cbranch_vccnz .LBB0_8
; %bb.7:                                ;   in Loop: Header=BB0_2 Depth=1
	v_dual_mov_b32 v7, v9 :: v_dual_mov_b32 v8, v10
	s_branch .LBB0_2
.LBB0_8:
	s_lshl_b64 s[2:3], s[6:7], 3
	v_mul_hi_u32 v2, 0xaaaaaaab, v1
	s_wait_alu 0xfffe
	s_add_nc_u64 s[2:3], s[10:11], s[2:3]
	s_load_b64 s[0:1], s[0:1], 0x20
	s_load_b64 s[2:3], s[2:3], 0x0
	v_mul_hi_u32 v5, 0xf0f0f10, v0
	s_delay_alu instid0(VALU_DEP_2) | instskip(NEXT) | instid1(VALU_DEP_2)
	v_lshrrev_b32_e32 v2, 1, v2
	v_mul_u32_u24_e32 v5, 17, v5
	s_delay_alu instid0(VALU_DEP_2) | instskip(NEXT) | instid1(VALU_DEP_2)
	v_lshl_add_u32 v2, v2, 1, v2
	v_sub_nc_u32_e32 v64, v0, v5
	s_delay_alu instid0(VALU_DEP_2)
	v_sub_nc_u32_e32 v1, v1, v2
	s_wait_kmcnt 0x0
	v_cmp_gt_u64_e32 vcc_lo, s[0:1], v[9:10]
	v_mul_lo_u32 v6, s2, v10
	v_mul_lo_u32 v7, s3, v9
	v_mad_co_u64_u32 v[3:4], null, s2, v9, v[3:4]
	v_mul_u32_u24_e32 v2, 0x199, v1
	s_delay_alu instid0(VALU_DEP_1) | instskip(NEXT) | instid1(VALU_DEP_3)
	v_lshlrev_b32_e32 v74, 3, v2
	v_add3_u32 v4, v7, v4, v6
	s_delay_alu instid0(VALU_DEP_1)
	v_lshlrev_b64_e32 v[66:67], 3, v[3:4]
	s_and_saveexec_b32 s1, vcc_lo
	s_cbranch_execz .LBB0_12
; %bb.9:
	v_mov_b32_e32 v65, 0
	s_delay_alu instid0(VALU_DEP_2) | instskip(SKIP_2) | instid1(VALU_DEP_3)
	v_add_co_u32 v0, s0, s8, v66
	s_wait_alu 0xf1ff
	v_add_co_ci_u32_e64 v1, s0, s9, v67, s0
	v_lshlrev_b64_e32 v[3:4], 3, v[64:65]
	s_mov_b32 s2, exec_lo
	s_delay_alu instid0(VALU_DEP_1) | instskip(SKIP_1) | instid1(VALU_DEP_2)
	v_add_co_u32 v3, s0, v0, v3
	s_wait_alu 0xf1ff
	v_add_co_ci_u32_e64 v4, s0, v1, v4, s0
	s_clause 0x17
	global_load_b64 v[5:6], v[3:4], off
	global_load_b64 v[7:8], v[3:4], off offset:136
	global_load_b64 v[9:10], v[3:4], off offset:272
	;; [unrolled: 1-line block ×23, first 2 shown]
	v_lshlrev_b32_e32 v3, 3, v64
	s_delay_alu instid0(VALU_DEP_1) | instskip(NEXT) | instid1(VALU_DEP_1)
	v_add3_u32 v3, 0, v74, v3
	v_add_nc_u32_e32 v4, 0x800, v3
	s_wait_loadcnt 0x16
	ds_store_2addr_b64 v3, v[5:6], v[7:8] offset1:17
	s_wait_loadcnt 0x14
	ds_store_2addr_b64 v3, v[9:10], v[11:12] offset0:34 offset1:51
	s_wait_loadcnt 0x12
	ds_store_2addr_b64 v3, v[13:14], v[15:16] offset0:68 offset1:85
	;; [unrolled: 2-line block ×11, first 2 shown]
	v_cmpx_eq_u32_e32 16, v64
	s_cbranch_execz .LBB0_11
; %bb.10:
	global_load_b64 v[0:1], v[0:1], off offset:3264
	v_mov_b32_e32 v64, 16
	s_wait_loadcnt 0x0
	ds_store_b64 v3, v[0:1] offset:3136
.LBB0_11:
	s_wait_alu 0xfffe
	s_or_b32 exec_lo, exec_lo, s2
.LBB0_12:
	s_wait_alu 0xfffe
	s_or_b32 exec_lo, exec_lo, s1
	v_lshl_add_u32 v72, v2, 3, 0
	v_lshlrev_b32_e32 v0, 3, v64
	global_wb scope:SCOPE_SE
	s_wait_dscnt 0x0
	s_barrier_signal -1
	s_barrier_wait -1
	global_inv scope:SCOPE_SE
	v_add_nc_u32_e32 v73, v72, v0
	v_sub_nc_u32_e32 v4, v72, v0
	s_mov_b32 s1, exec_lo
                                        ; implicit-def: $vgpr2_vgpr3
	ds_load_b32 v5, v73
	ds_load_b32 v6, v4 offset:3264
	s_wait_dscnt 0x0
	v_dual_add_f32 v0, v6, v5 :: v_dual_sub_f32 v1, v5, v6
	v_cmpx_ne_u32_e32 0, v64
	s_wait_alu 0xfffe
	s_xor_b32 s1, exec_lo, s1
	s_cbranch_execz .LBB0_14
; %bb.13:
	v_dual_mov_b32 v65, 0 :: v_dual_sub_f32 v8, v5, v6
	s_delay_alu instid0(VALU_DEP_1) | instskip(NEXT) | instid1(VALU_DEP_1)
	v_lshlrev_b64_e32 v[0:1], 3, v[64:65]
	v_add_co_u32 v0, s0, s4, v0
	s_wait_alu 0xf1ff
	s_delay_alu instid0(VALU_DEP_2)
	v_add_co_ci_u32_e64 v1, s0, s5, v1, s0
	global_load_b64 v[2:3], v[0:1], off offset:3128
	ds_load_b32 v0, v4 offset:3268
	ds_load_b32 v1, v73 offset:4
	v_add_f32_e32 v7, v6, v5
	s_wait_dscnt 0x0
	v_dual_add_f32 v9, v0, v1 :: v_dual_sub_f32 v0, v1, v0
	s_wait_loadcnt 0x0
	s_delay_alu instid0(VALU_DEP_2) | instskip(NEXT) | instid1(VALU_DEP_2)
	v_fma_f32 v5, -v8, v3, v7
	v_fma_f32 v6, v9, v3, -v0
	v_fma_f32 v10, v8, v3, v7
	v_fma_f32 v1, v9, v3, v0
	s_delay_alu instid0(VALU_DEP_3) | instskip(NEXT) | instid1(VALU_DEP_3)
	v_dual_fmac_f32 v5, v2, v9 :: v_dual_fmac_f32 v6, v8, v2
	v_fma_f32 v0, -v2, v9, v10
	s_delay_alu instid0(VALU_DEP_3)
	v_fmac_f32_e32 v1, v8, v2
	v_dual_mov_b32 v2, v64 :: v_dual_mov_b32 v3, v65
	ds_store_b64 v4, v[5:6] offset:3264
.LBB0_14:
	s_wait_alu 0xfffe
	s_and_not1_saveexec_b32 s0, s1
	s_cbranch_execz .LBB0_16
; %bb.15:
	ds_load_b64 v[2:3], v72 offset:1632
	s_wait_dscnt 0x0
	v_dual_add_f32 v5, v2, v2 :: v_dual_mul_f32 v6, -2.0, v3
	v_mov_b32_e32 v2, 0
	v_mov_b32_e32 v3, 0
	ds_store_b64 v72, v[5:6] offset:1632
.LBB0_16:
	s_wait_alu 0xfffe
	s_or_b32 exec_lo, exec_lo, s0
	v_lshlrev_b64_e32 v[2:3], 3, v[2:3]
	s_add_nc_u64 s[0:1], s[4:5], 0xc38
	s_wait_alu 0xfffe
	s_delay_alu instid0(VALU_DEP_1) | instskip(SKIP_1) | instid1(VALU_DEP_2)
	v_add_co_u32 v2, s0, s0, v2
	s_wait_alu 0xf1ff
	v_add_co_ci_u32_e64 v3, s0, s1, v3, s0
	s_mov_b32 s1, exec_lo
	s_clause 0x6
	global_load_b64 v[5:6], v[2:3], off offset:136
	global_load_b64 v[7:8], v[2:3], off offset:272
	global_load_b64 v[9:10], v[2:3], off offset:408
	global_load_b64 v[11:12], v[2:3], off offset:544
	global_load_b64 v[13:14], v[2:3], off offset:680
	global_load_b64 v[15:16], v[2:3], off offset:816
	global_load_b64 v[17:18], v[2:3], off offset:952
	ds_store_b64 v73, v[0:1]
	ds_load_b64 v[0:1], v73 offset:136
	ds_load_b64 v[19:20], v4 offset:3128
	global_load_b64 v[21:22], v[2:3], off offset:1088
	s_wait_dscnt 0x0
	v_add_f32_e32 v23, v0, v19
	v_add_f32_e32 v24, v20, v1
	v_dual_sub_f32 v25, v0, v19 :: v_dual_sub_f32 v0, v1, v20
	s_wait_loadcnt 0x7
	s_delay_alu instid0(VALU_DEP_1) | instskip(NEXT) | instid1(VALU_DEP_2)
	v_fma_f32 v26, v25, v6, v23
	v_fma_f32 v1, v24, v6, v0
	v_fma_f32 v19, -v25, v6, v23
	v_fma_f32 v20, v24, v6, -v0
	s_delay_alu instid0(VALU_DEP_4) | instskip(NEXT) | instid1(VALU_DEP_4)
	v_fma_f32 v0, -v5, v24, v26
	v_fmac_f32_e32 v1, v25, v5
	s_delay_alu instid0(VALU_DEP_4) | instskip(NEXT) | instid1(VALU_DEP_4)
	v_fmac_f32_e32 v19, v5, v24
	v_fmac_f32_e32 v20, v25, v5
	ds_store_b64 v73, v[0:1] offset:136
	ds_store_b64 v4, v[19:20] offset:3128
	ds_load_b64 v[0:1], v73 offset:272
	ds_load_b64 v[5:6], v4 offset:2992
	global_load_b64 v[19:20], v[2:3], off offset:1224
	s_wait_dscnt 0x0
	v_add_f32_e32 v23, v0, v5
	v_add_f32_e32 v24, v6, v1
	v_dual_sub_f32 v25, v0, v5 :: v_dual_sub_f32 v0, v1, v6
	s_wait_loadcnt 0x7
	s_delay_alu instid0(VALU_DEP_1) | instskip(NEXT) | instid1(VALU_DEP_2)
	v_fma_f32 v26, v25, v8, v23
	v_fma_f32 v1, v24, v8, v0
	v_fma_f32 v5, -v25, v8, v23
	v_fma_f32 v6, v24, v8, -v0
	s_delay_alu instid0(VALU_DEP_4) | instskip(NEXT) | instid1(VALU_DEP_4)
	v_fma_f32 v0, -v7, v24, v26
	v_fmac_f32_e32 v1, v25, v7
	s_delay_alu instid0(VALU_DEP_3)
	v_dual_fmac_f32 v5, v7, v24 :: v_dual_fmac_f32 v6, v25, v7
	ds_store_b64 v73, v[0:1] offset:272
	ds_store_b64 v4, v[5:6] offset:2992
	ds_load_b64 v[0:1], v73 offset:408
	ds_load_b64 v[5:6], v4 offset:2856
	global_load_b64 v[7:8], v[2:3], off offset:1360
	s_wait_dscnt 0x0
	v_add_f32_e32 v23, v0, v5
	v_add_f32_e32 v24, v6, v1
	v_dual_sub_f32 v25, v0, v5 :: v_dual_sub_f32 v0, v1, v6
	s_wait_loadcnt 0x7
	s_delay_alu instid0(VALU_DEP_1) | instskip(NEXT) | instid1(VALU_DEP_2)
	v_fma_f32 v26, v25, v10, v23
	v_fma_f32 v1, v24, v10, v0
	v_fma_f32 v5, -v25, v10, v23
	v_fma_f32 v6, v24, v10, -v0
	s_delay_alu instid0(VALU_DEP_4) | instskip(NEXT) | instid1(VALU_DEP_4)
	v_fma_f32 v0, -v9, v24, v26
	v_fmac_f32_e32 v1, v25, v9
	s_delay_alu instid0(VALU_DEP_4) | instskip(NEXT) | instid1(VALU_DEP_4)
	v_fmac_f32_e32 v5, v9, v24
	v_fmac_f32_e32 v6, v25, v9
	ds_store_b64 v73, v[0:1] offset:408
	ds_store_b64 v4, v[5:6] offset:2856
	ds_load_b64 v[5:6], v73 offset:544
	ds_load_b64 v[9:10], v4 offset:2720
	global_load_b64 v[0:1], v[2:3], off offset:1496
	s_wait_dscnt 0x0
	v_dual_add_f32 v2, v5, v9 :: v_dual_add_f32 v23, v10, v6
	v_dual_sub_f32 v9, v5, v9 :: v_dual_sub_f32 v6, v6, v10
	s_wait_loadcnt 0x7
	s_delay_alu instid0(VALU_DEP_1) | instskip(NEXT) | instid1(VALU_DEP_2)
	v_fma_f32 v10, v9, v12, v2
	v_fma_f32 v3, v23, v12, v6
	v_fma_f32 v5, -v9, v12, v2
	v_fma_f32 v6, v23, v12, -v6
	s_delay_alu instid0(VALU_DEP_4) | instskip(NEXT) | instid1(VALU_DEP_4)
	v_fma_f32 v2, -v11, v23, v10
	v_fmac_f32_e32 v3, v9, v11
	s_delay_alu instid0(VALU_DEP_4) | instskip(NEXT) | instid1(VALU_DEP_4)
	v_fmac_f32_e32 v5, v11, v23
	v_fmac_f32_e32 v6, v9, v11
	ds_store_b64 v73, v[2:3] offset:544
	ds_store_b64 v4, v[5:6] offset:2720
	ds_load_b64 v[2:3], v73 offset:680
	ds_load_b64 v[5:6], v4 offset:2584
	s_wait_dscnt 0x0
	v_add_f32_e32 v9, v2, v5
	v_add_f32_e32 v10, v6, v3
	v_dual_sub_f32 v11, v2, v5 :: v_dual_sub_f32 v2, v3, v6
	s_wait_loadcnt 0x6
	s_delay_alu instid0(VALU_DEP_1) | instskip(NEXT) | instid1(VALU_DEP_2)
	v_fma_f32 v12, v11, v14, v9
	v_fma_f32 v3, v10, v14, v2
	v_fma_f32 v5, -v11, v14, v9
	v_fma_f32 v6, v10, v14, -v2
	s_delay_alu instid0(VALU_DEP_4) | instskip(NEXT) | instid1(VALU_DEP_4)
	v_fma_f32 v2, -v13, v10, v12
	v_fmac_f32_e32 v3, v11, v13
	s_delay_alu instid0(VALU_DEP_3)
	v_dual_fmac_f32 v5, v13, v10 :: v_dual_fmac_f32 v6, v11, v13
	ds_store_b64 v73, v[2:3] offset:680
	ds_store_b64 v4, v[5:6] offset:2584
	ds_load_b64 v[2:3], v73 offset:816
	ds_load_b64 v[5:6], v4 offset:2448
	s_wait_dscnt 0x0
	v_add_f32_e32 v9, v2, v5
	v_add_f32_e32 v10, v6, v3
	v_dual_sub_f32 v11, v2, v5 :: v_dual_sub_f32 v2, v3, v6
	s_wait_loadcnt 0x5
	s_delay_alu instid0(VALU_DEP_1) | instskip(NEXT) | instid1(VALU_DEP_2)
	v_fma_f32 v12, v11, v16, v9
	v_fma_f32 v3, v10, v16, v2
	v_fma_f32 v5, -v11, v16, v9
	v_fma_f32 v6, v10, v16, -v2
	s_delay_alu instid0(VALU_DEP_4) | instskip(NEXT) | instid1(VALU_DEP_4)
	v_fma_f32 v2, -v15, v10, v12
	v_fmac_f32_e32 v3, v11, v15
	s_delay_alu instid0(VALU_DEP_4) | instskip(NEXT) | instid1(VALU_DEP_4)
	v_fmac_f32_e32 v5, v15, v10
	v_fmac_f32_e32 v6, v11, v15
	ds_store_b64 v73, v[2:3] offset:816
	ds_store_b64 v4, v[5:6] offset:2448
	ds_load_b64 v[2:3], v73 offset:952
	ds_load_b64 v[5:6], v4 offset:2312
	s_wait_dscnt 0x0
	v_add_f32_e32 v10, v6, v3
	v_add_f32_e32 v9, v2, v5
	v_dual_sub_f32 v11, v2, v5 :: v_dual_sub_f32 v2, v3, v6
	s_wait_loadcnt 0x4
	s_delay_alu instid0(VALU_DEP_1) | instskip(NEXT) | instid1(VALU_DEP_2)
	v_fma_f32 v12, v11, v18, v9
	v_fma_f32 v3, v10, v18, v2
	v_fma_f32 v5, -v11, v18, v9
	v_fma_f32 v6, v10, v18, -v2
	s_delay_alu instid0(VALU_DEP_4) | instskip(NEXT) | instid1(VALU_DEP_4)
	v_fma_f32 v2, -v17, v10, v12
	v_fmac_f32_e32 v3, v11, v17
	s_delay_alu instid0(VALU_DEP_3)
	v_dual_fmac_f32 v5, v17, v10 :: v_dual_fmac_f32 v6, v11, v17
	ds_store_b64 v73, v[2:3] offset:952
	ds_store_b64 v4, v[5:6] offset:2312
	ds_load_b64 v[2:3], v73 offset:1088
	ds_load_b64 v[5:6], v4 offset:2176
	s_wait_dscnt 0x0
	v_add_f32_e32 v9, v2, v5
	v_sub_f32_e32 v11, v2, v5
	v_add_f32_e32 v10, v6, v3
	v_sub_f32_e32 v2, v3, v6
	s_wait_loadcnt 0x3
	s_delay_alu instid0(VALU_DEP_3) | instskip(SKIP_1) | instid1(VALU_DEP_3)
	v_fma_f32 v12, v11, v22, v9
	v_fma_f32 v5, -v11, v22, v9
	v_fma_f32 v3, v10, v22, v2
	v_xor_b32_e32 v9, 0xff, v64
	s_delay_alu instid0(VALU_DEP_2) | instskip(SKIP_4) | instid1(VALU_DEP_4)
	v_fmac_f32_e32 v3, v11, v21
	v_fma_f32 v6, v10, v22, -v2
	v_fma_f32 v2, -v21, v10, v12
	v_fmac_f32_e32 v5, v21, v10
	v_lshl_add_u32 v9, v9, 3, v72
	v_fmac_f32_e32 v6, v11, v21
	ds_store_b64 v73, v[2:3] offset:1088
	ds_store_b64 v4, v[5:6] offset:2176
	ds_load_b64 v[2:3], v73 offset:1224
	ds_load_b64 v[5:6], v9
	s_wait_dscnt 0x0
	v_add_f32_e32 v10, v2, v5
	v_add_f32_e32 v11, v6, v3
	v_sub_f32_e32 v12, v2, v5
	v_sub_f32_e32 v2, v3, v6
	s_wait_loadcnt 0x2
	s_delay_alu instid0(VALU_DEP_2) | instskip(NEXT) | instid1(VALU_DEP_2)
	v_fma_f32 v5, -v12, v20, v10
	v_fma_f32 v3, v11, v20, v2
	v_fma_f32 v6, v11, v20, -v2
	s_delay_alu instid0(VALU_DEP_3) | instskip(SKIP_1) | instid1(VALU_DEP_4)
	v_fmac_f32_e32 v5, v19, v11
	v_fma_f32 v13, v12, v20, v10
	v_fmac_f32_e32 v3, v12, v19
	s_delay_alu instid0(VALU_DEP_4) | instskip(NEXT) | instid1(VALU_DEP_3)
	v_fmac_f32_e32 v6, v12, v19
	v_fma_f32 v2, -v19, v11, v13
	ds_store_b64 v73, v[2:3] offset:1224
	ds_store_b64 v9, v[5:6]
	ds_load_b64 v[2:3], v73 offset:1360
	ds_load_b64 v[5:6], v4 offset:1904
	s_wait_dscnt 0x0
	v_add_f32_e32 v9, v2, v5
	v_add_f32_e32 v10, v6, v3
	v_dual_sub_f32 v11, v2, v5 :: v_dual_sub_f32 v2, v3, v6
	s_wait_loadcnt 0x1
	s_delay_alu instid0(VALU_DEP_1) | instskip(NEXT) | instid1(VALU_DEP_2)
	v_fma_f32 v12, v11, v8, v9
	v_fma_f32 v3, v10, v8, v2
	v_fma_f32 v5, -v11, v8, v9
	v_fma_f32 v6, v10, v8, -v2
	s_delay_alu instid0(VALU_DEP_4) | instskip(NEXT) | instid1(VALU_DEP_4)
	v_fma_f32 v2, -v7, v10, v12
	v_fmac_f32_e32 v3, v11, v7
	s_delay_alu instid0(VALU_DEP_4) | instskip(NEXT) | instid1(VALU_DEP_4)
	v_fmac_f32_e32 v5, v7, v10
	v_fmac_f32_e32 v6, v11, v7
	ds_store_b64 v73, v[2:3] offset:1360
	ds_store_b64 v4, v[5:6] offset:1904
	ds_load_b64 v[6:7], v73 offset:1496
	ds_load_b64 v[8:9], v4 offset:1768
	s_wait_dscnt 0x0
	v_dual_add_f32 v5, v6, v8 :: v_dual_add_f32 v2, v9, v7
	v_dual_sub_f32 v3, v6, v8 :: v_dual_sub_f32 v6, v7, v9
	v_lshl_add_u32 v7, v64, 3, 0
	v_mul_u32_u24_e32 v9, 0x88, v64
	s_wait_loadcnt 0x0
	s_delay_alu instid0(VALU_DEP_3)
	v_fma_f32 v10, v3, v1, v5
	v_fma_f32 v8, v2, v1, v6
	v_fma_f32 v5, -v3, v1, v5
	v_fma_f32 v6, v2, v1, -v6
	v_add_nc_u32_e32 v65, v7, v74
	v_fma_f32 v7, -v0, v2, v10
	s_delay_alu instid0(VALU_DEP_4) | instskip(NEXT) | instid1(VALU_DEP_3)
	v_dual_fmac_f32 v8, v3, v0 :: v_dual_fmac_f32 v5, v0, v2
	v_dual_fmac_f32 v6, v3, v0 :: v_dual_add_nc_u32 v75, 0x800, v65
	v_add3_u32 v76, 0, v9, v74
	ds_store_b64 v73, v[7:8] offset:1496
	ds_store_b64 v4, v[5:6] offset:1768
	global_wb scope:SCOPE_SE
	s_wait_dscnt 0x0
	s_barrier_signal -1
	s_barrier_wait -1
	global_inv scope:SCOPE_SE
	global_wb scope:SCOPE_SE
	s_barrier_signal -1
	s_barrier_wait -1
	global_inv scope:SCOPE_SE
	ds_load_2addr_b64 v[0:3], v65 offset0:17 offset1:24
	ds_load_2addr_b64 v[4:7], v75 offset0:121 offset1:128
	ds_load_2addr_b64 v[60:63], v65 offset0:41 offset1:48
	ds_load_2addr_b64 v[8:11], v75 offset0:97 offset1:104
	ds_load_2addr_b64 v[56:59], v65 offset0:65 offset1:72
	ds_load_2addr_b64 v[12:15], v75 offset0:73 offset1:80
	ds_load_2addr_b64 v[52:55], v65 offset0:89 offset1:96
	ds_load_2addr_b64 v[16:19], v75 offset0:49 offset1:56
	ds_load_2addr_b64 v[48:51], v65 offset0:113 offset1:120
	ds_load_2addr_b64 v[40:43], v65 offset0:137 offset1:144
	ds_load_2addr_b64 v[20:23], v75 offset0:25 offset1:32
	ds_load_2addr_b64 v[24:27], v75 offset0:1 offset1:8
	ds_load_b64 v[70:71], v73
	ds_load_b64 v[68:69], v65 offset:3208
	ds_load_2addr_b64 v[44:47], v65 offset0:161 offset1:168
	ds_load_2addr_b64 v[28:31], v65 offset0:233 offset1:240
	;; [unrolled: 1-line block ×4, first 2 shown]
	global_wb scope:SCOPE_SE
	s_wait_dscnt 0x0
	s_barrier_signal -1
	s_barrier_wait -1
	v_dual_sub_f32 v141, v3, v7 :: v_dual_add_f32 v136, v6, v2
	v_add_f32_e32 v117, v7, v3
	v_add_f32_e32 v102, v11, v63
	v_sub_f32_e32 v103, v59, v15
	v_add_f32_e32 v87, v14, v58
	v_add_f32_e32 v99, v19, v55
	v_sub_f32_e32 v137, v2, v6
	v_dual_add_f32 v89, v10, v62 :: v_dual_sub_f32 v98, v51, v23
	v_sub_f32_e32 v82, v42, v26
	v_dual_mul_f32 v192, 0xbf65296c, v141 :: v_dual_add_f32 v97, v23, v51
	v_mul_f32_e32 v168, 0xbf7ba420, v102
	v_dual_sub_f32 v80, v46, v30 :: v_dual_mul_f32 v187, 0xbf65296c, v103
	v_dual_add_f32 v95, v27, v43 :: v_dual_mul_f32 v142, 0xbf65296c, v98
	v_dual_sub_f32 v92, v39, v35 :: v_dual_add_f32 v77, v34, v38
	v_mul_f32_e32 v154, 0xbf763a35, v141
	v_dual_sub_f32 v78, v38, v34 :: v_dual_mul_f32 v147, 0x3ee437d1, v99
	v_fmamk_f32 v208, v136, 0x3ee437d1, v192
	v_mul_f32_e32 v179, 0xbf06c442, v141
	v_dual_mul_f32 v122, 0xbeb8f4ab, v98 :: v_dual_mul_f32 v183, 0xbeb8f4ab, v141
	v_sub_f32_e32 v84, v50, v22
	v_sub_f32_e32 v94, v47, v31
	v_dual_add_f32 v93, v31, v47 :: v_dual_mul_f32 v144, 0xbf7ee86f, v141
	v_dual_mul_f32 v129, 0xbf4c4adb, v92 :: v_dual_mul_f32 v172, 0xbf4c4adb, v141
	v_dual_mul_f32 v111, 0x3f3d2fb0, v95 :: v_dual_mul_f32 v190, 0x3f3d2fb0, v117
	v_dual_mul_f32 v115, 0x3f6eb680, v97 :: v_dual_fmamk_f32 v204, v136, 0x3f6eb680, v183
	v_fmamk_f32 v198, v136, 0xbe8c1d8e, v154
	v_fma_f32 v183, 0x3f6eb680, v136, -v183
	v_mul_f32_e32 v188, 0xbf2c7751, v141
	v_fma_f32 v154, 0xbe8c1d8e, v136, -v154
	v_dual_add_f32 v208, v70, v208 :: v_dual_mul_f32 v175, 0xbf59a7d5, v102
	v_dual_fmamk_f32 v202, v136, 0xbf59a7d5, v179 :: v_dual_sub_f32 v101, v55, v19
	v_add_f32_e32 v148, v70, v2
	v_sub_f32_e32 v96, v43, v27
	v_mul_f32_e32 v128, 0x3f4c4adb, v94
	s_delay_alu instid0(VALU_DEP_4)
	v_dual_mul_f32 v119, 0x3dbcf732, v97 :: v_dual_add_f32 v202, v70, v202
	v_dual_mul_f32 v121, 0xbf1a4643, v99 :: v_dual_fmamk_f32 v200, v136, 0xbf1a4643, v172
	v_mul_f32_e32 v141, 0xbe3c28d5, v141
	v_dual_mul_f32 v194, 0xbf7ba420, v117 :: v_dual_add_f32 v213, v70, v154
	v_fmamk_f32 v195, v136, 0x3dbcf732, v144
	v_fmamk_f32 v207, v137, 0x3f2c7751, v190
	v_fma_f32 v192, 0x3ee437d1, v136, -v192
	v_fma_f32 v144, 0x3dbcf732, v136, -v144
	v_mul_f32_e32 v185, 0x3f6eb680, v117
	v_fma_f32 v172, 0xbf1a4643, v136, -v172
	v_add_f32_e32 v183, v70, v183
	v_dual_mul_f32 v107, 0x3f3d2fb0, v93 :: v_dual_fmamk_f32 v206, v136, 0x3f3d2fb0, v188
	v_fma_f32 v188, 0x3f3d2fb0, v136, -v188
	v_mul_f32_e32 v181, 0xbf59a7d5, v117
	v_mul_f32_e32 v113, 0x3f2c7751, v94
	v_dual_mul_f32 v160, 0xbf7ee86f, v101 :: v_dual_add_f32 v207, v71, v207
	v_fma_f32 v179, 0xbf59a7d5, v136, -v179
	v_dual_fmac_f32 v190, 0xbf2c7751, v137 :: v_dual_add_f32 v215, v70, v172
	v_add_f32_e32 v188, v70, v188
	v_mul_f32_e32 v172, 0xbe3c28d5, v92
	v_fmamk_f32 v210, v136, 0xbf7ba420, v141
	v_fma_f32 v141, 0xbf7ba420, v136, -v141
	v_add_f32_e32 v136, v70, v192
	v_dual_add_f32 v192, v70, v144 :: v_dual_fmamk_f32 v205, v137, 0x3eb8f4ab, v185
	v_dual_fmac_f32 v185, 0xbeb8f4ab, v137 :: v_dual_sub_f32 v104, v63, v11
	v_add_f32_e32 v91, v35, v39
	v_dual_add_f32 v149, v71, v3 :: v_dual_mul_f32 v170, 0xbe8c1d8e, v117
	v_dual_mul_f32 v145, 0x3dbcf732, v117 :: v_dual_mul_f32 v134, 0x3dbcf732, v95
	v_dual_mul_f32 v177, 0xbf1a4643, v117 :: v_dual_mul_f32 v164, 0xbf1a4643, v95
	v_add_f32_e32 v185, v71, v185
	v_dual_mul_f32 v155, 0xbf06c442, v101 :: v_dual_add_f32 v198, v70, v198
	v_dual_mul_f32 v193, 0x3ee437d1, v117 :: v_dual_sub_f32 v90, v62, v10
	v_dual_add_f32 v100, v15, v59 :: v_dual_mul_f32 v169, 0xbe3c28d5, v104
	v_mul_f32_e32 v114, 0xbe3c28d5, v94
	v_dual_mul_f32 v139, 0x3ee437d1, v97 :: v_dual_mul_f32 v182, 0x3ee437d1, v102
	v_mul_f32_e32 v174, 0x3f06c442, v104
	v_dual_mul_f32 v109, 0x3f65296c, v92 :: v_dual_add_f32 v206, v70, v206
	v_dual_mul_f32 v105, 0x3ee437d1, v91 :: v_dual_add_f32 v204, v70, v204
	v_dual_mul_f32 v180, 0x3f65296c, v104 :: v_dual_fmamk_f32 v209, v137, 0x3f65296c, v193
	v_dual_mul_f32 v124, 0x3f4c4adb, v101 :: v_dual_fmamk_f32 v201, v137, 0x3f4c4adb, v177
	v_dual_mul_f32 v166, 0xbf4c4adb, v96 :: v_dual_fmac_f32 v177, 0xbf4c4adb, v137
	s_delay_alu instid0(VALU_DEP_3)
	v_dual_fmamk_f32 v196, v137, 0x3f7ee86f, v145 :: v_dual_add_f32 v209, v71, v209
	v_fmamk_f32 v199, v137, 0x3f763a35, v170
	v_fmamk_f32 v203, v137, 0x3f06c442, v181
	v_fmac_f32_e32 v193, 0xbf65296c, v137
	v_fmac_f32_e32 v145, 0xbf7ee86f, v137
	v_dual_fmac_f32 v170, 0xbf763a35, v137 :: v_dual_add_f32 v179, v70, v179
	v_fmac_f32_e32 v181, 0xbf06c442, v137
	v_fmamk_f32 v211, v137, 0x3e3c28d5, v194
	v_fmac_f32_e32 v194, 0xbe3c28d5, v137
	v_dual_mul_f32 v161, 0x3f763a35, v103 :: v_dual_mul_f32 v176, 0x3f763a35, v104
	v_dual_mul_f32 v153, 0xbf65296c, v101 :: v_dual_add_f32 v196, v71, v196
	v_dual_mul_f32 v140, 0xbf7ba420, v97 :: v_dual_fmamk_f32 v197, v89, 0xbf7ba420, v169
	v_dual_mul_f32 v178, 0xbe8c1d8e, v102 :: v_dual_mul_f32 v167, 0xbe8c1d8e, v97
	v_dual_mul_f32 v151, 0xbf59a7d5, v99 :: v_dual_add_f32 v200, v70, v200
	v_dual_mul_f32 v120, 0xbf2c7751, v96 :: v_dual_add_f32 v195, v70, v195
	;; [unrolled: 1-line block ×9, first 2 shown]
	v_dual_fmamk_f32 v212, v90, 0x3e3c28d5, v168 :: v_dual_add_f32 v137, v71, v193
	v_add_f32_e32 v193, v71, v145
	v_dual_add_f32 v177, v71, v177 :: v_dual_fmamk_f32 v154, v90, 0xbf06c442, v175
	v_dual_add_f32 v181, v71, v181 :: v_dual_fmamk_f32 v170, v89, 0xbe8c1d8e, v176
	v_add_f32_e32 v145, v70, v210
	v_mul_f32_e32 v157, 0x3dbcf732, v99
	v_dual_add_f32 v141, v70, v141 :: v_dual_add_f32 v70, v71, v194
	v_fmamk_f32 v71, v89, 0xbf59a7d5, v174
	v_dual_mul_f32 v159, 0x3f3d2fb0, v100 :: v_dual_mul_f32 v186, 0x3f3d2fb0, v102
	v_dual_mul_f32 v3, 0xbf4c4adb, v104 :: v_dual_add_f32 v194, v197, v195
	s_delay_alu instid0(VALU_DEP_3) | instskip(SKIP_4) | instid1(VALU_DEP_4)
	v_dual_add_f32 v195, v212, v196 :: v_dual_add_f32 v196, v71, v198
	v_fmamk_f32 v71, v90, 0xbf763a35, v178
	v_dual_mul_f32 v132, 0xbf7ee86f, v103 :: v_dual_mul_f32 v189, 0xbf7ee86f, v104
	v_dual_mul_f32 v117, 0xbf1a4643, v102 :: v_dual_add_f32 v198, v170, v200
	v_dual_add_f32 v197, v154, v199 :: v_dual_fmamk_f32 v154, v89, 0x3ee437d1, v180
	v_dual_fmamk_f32 v170, v90, 0xbf65296c, v182 :: v_dual_add_f32 v199, v71, v201
	v_fmamk_f32 v71, v89, 0x3f3d2fb0, v184
	v_fma_f32 v169, 0xbf7ba420, v89, -v169
	s_delay_alu instid0(VALU_DEP_4)
	v_add_f32_e32 v200, v154, v202
	v_fmamk_f32 v154, v90, 0x3f2c7751, v186
	v_dual_add_f32 v201, v170, v203 :: v_dual_fmac_f32 v186, 0xbf2c7751, v90
	v_fmamk_f32 v170, v89, 0x3dbcf732, v189
	v_dual_add_f32 v202, v71, v204 :: v_dual_fmamk_f32 v71, v90, 0x3f7ee86f, v191
	v_fma_f32 v189, 0x3dbcf732, v89, -v189
	v_fmac_f32_e32 v191, 0xbf7ee86f, v90
	v_fmac_f32_e32 v168, 0xbe3c28d5, v90
	v_sub_f32_e32 v88, v58, v14
	v_dual_add_f32 v85, v18, v54 :: v_dual_mul_f32 v158, 0xbe8c1d8e, v100
	v_dual_mul_f32 v127, 0x3f2c7751, v92 :: v_dual_mul_f32 v162, 0x3f2c7751, v103
	v_dual_add_f32 v185, v186, v185 :: v_dual_add_f32 v186, v189, v188
	v_dual_mul_f32 v188, 0xbe3c28d5, v101 :: v_dual_add_f32 v189, v191, v190
	v_fma_f32 v174, 0xbf59a7d5, v89, -v174
	v_dual_add_f32 v191, v169, v192 :: v_dual_mul_f32 v192, 0x3f06c442, v98
	v_add_f32_e32 v193, v168, v193
	v_dual_mul_f32 v211, 0x3f763a35, v96 :: v_dual_fmac_f32 v178, 0x3f763a35, v90
	v_fma_f32 v168, 0xbe8c1d8e, v89, -v176
	v_fma_f32 v169, 0x3ee437d1, v89, -v180
	v_dual_mul_f32 v130, 0xbeb8f4ab, v94 :: v_dual_mul_f32 v165, 0xbeb8f4ab, v103
	v_add_f32_e32 v210, v174, v213
	s_delay_alu instid0(VALU_DEP_4)
	v_add_f32_e32 v180, v168, v215
	v_dual_mul_f32 v212, 0x3f65296c, v94 :: v_dual_add_f32 v177, v178, v177
	v_fmac_f32_e32 v182, 0x3f65296c, v90
	v_fmamk_f32 v168, v87, 0xbe8c1d8e, v161
	v_add_f32_e32 v178, v169, v179
	v_fmamk_f32 v174, v87, 0x3f3d2fb0, v162
	v_fma_f32 v162, 0x3f3d2fb0, v87, -v162
	v_fmamk_f32 v169, v88, 0xbf763a35, v158
	v_dual_mul_f32 v126, 0x3f6eb680, v93 :: v_dual_mul_f32 v163, 0x3f6eb680, v100
	v_dual_add_f32 v179, v182, v181 :: v_dual_fmac_f32 v158, 0x3f763a35, v88
	s_delay_alu instid0(VALU_DEP_4) | instskip(NEXT) | instid1(VALU_DEP_4)
	v_add_f32_e32 v162, v162, v210
	v_dual_add_f32 v182, v169, v195 :: v_dual_fmamk_f32 v169, v87, 0x3f6eb680, v165
	v_dual_add_f32 v203, v154, v205 :: v_dual_fmamk_f32 v154, v89, 0xbf1a4643, v3
	v_add_f32_e32 v204, v170, v206
	v_mul_f32_e32 v170, 0xbf7ba420, v91
	v_add_f32_e32 v206, v71, v207
	v_fma_f32 v71, 0x3f3d2fb0, v89, -v184
	v_dual_add_f32 v181, v168, v194 :: v_dual_add_f32 v194, v174, v196
	v_dual_add_f32 v193, v158, v193 :: v_dual_mul_f32 v158, 0x3f6eb680, v95
	v_dual_fmamk_f32 v205, v90, 0x3f4c4adb, v117 :: v_dual_add_f32 v196, v169, v198
	v_fmamk_f32 v169, v88, 0x3f7ee86f, v123
	v_fmamk_f32 v174, v88, 0x3eb8f4ab, v163
	;; [unrolled: 1-line block ×3, first 2 shown]
	v_sub_f32_e32 v86, v54, v18
	v_dual_add_f32 v81, v26, v42 :: v_dual_mul_f32 v146, 0x3f6eb680, v99
	v_dual_add_f32 v207, v154, v208 :: v_dual_mul_f32 v208, 0xbf4c4adb, v103
	;; [unrolled: 1-line block ×3, first 2 shown]
	v_dual_add_f32 v195, v168, v197 :: v_dual_fmamk_f32 v168, v87, 0x3dbcf732, v132
	v_fma_f32 v165, 0x3f6eb680, v87, -v165
	v_fmac_f32_e32 v163, 0xbeb8f4ab, v88
	v_dual_add_f32 v83, v22, v50 :: v_dual_mul_f32 v150, 0x3eb8f4ab, v101
	v_mul_f32_e32 v190, 0xbf7ba420, v99
	v_add_f32_e32 v198, v168, v200
	v_fmamk_f32 v168, v88, 0x3f65296c, v171
	v_dual_fmac_f32 v171, 0xbf65296c, v88 :: v_dual_add_f32 v62, v148, v62
	v_dual_add_f32 v165, v165, v180 :: v_dual_fmamk_f32 v180, v86, 0xbeb8f4ab, v146
	v_add_f32_e32 v163, v163, v177
	v_fmamk_f32 v177, v85, 0x3ee437d1, v153
	v_dual_add_f32 v184, v205, v209 :: v_dual_mul_f32 v205, 0xbf1a4643, v100
	v_add_f32_e32 v197, v174, v199
	v_add_f32_e32 v185, v171, v185
	s_delay_alu instid0(VALU_DEP_4)
	v_dual_fmamk_f32 v174, v87, 0x3ee437d1, v187 :: v_dual_add_f32 v177, v177, v194
	v_fmamk_f32 v194, v86, 0x3f06c442, v151
	v_add_f32_e32 v180, v180, v182
	v_fmamk_f32 v182, v85, 0xbf59a7d5, v155
	v_fmac_f32_e32 v175, 0x3f06c442, v90
	v_fma_f32 v148, 0x3dbcf732, v85, -v160
	v_add_f32_e32 v194, v194, v197
	s_delay_alu instid0(VALU_DEP_4) | instskip(SKIP_3) | instid1(VALU_DEP_3)
	v_dual_add_f32 v199, v169, v201 :: v_dual_add_f32 v182, v182, v196
	v_fmamk_f32 v169, v87, 0xbf1a4643, v208
	v_dual_add_f32 v201, v168, v203 :: v_dual_add_f32 v200, v174, v202
	v_fmamk_f32 v174, v88, 0x3f4c4adb, v205
	v_dual_mul_f32 v71, 0x3e3c28d5, v103 :: v_dual_add_f32 v202, v169, v204
	v_fmamk_f32 v197, v85, 0x3dbcf732, v160
	v_dual_add_f32 v175, v175, v214 :: v_dual_mul_f32 v176, 0xbe8c1d8e, v95
	s_delay_alu instid0(VALU_DEP_4) | instskip(SKIP_1) | instid1(VALU_DEP_4)
	v_add_f32_e32 v204, v174, v206
	v_fma_f32 v174, 0x3ee437d1, v87, -v187
	v_dual_add_f32 v197, v197, v200 :: v_dual_fmamk_f32 v200, v86, 0x3e3c28d5, v190
	v_dual_add_f32 v63, v149, v63 :: v_dual_fmac_f32 v190, 0xbe3c28d5, v86
	s_delay_alu instid0(VALU_DEP_3)
	v_add_f32_e32 v183, v174, v183
	v_fma_f32 v174, 0xbf1a4643, v87, -v208
	v_fmac_f32_e32 v205, 0xbf4c4adb, v88
	v_mul_f32_e32 v209, 0xbf59a7d5, v97
	v_fma_f32 v149, 0xbf7ba420, v85, -v188
	v_fmac_f32_e32 v146, 0x3eb8f4ab, v86
	v_dual_add_f32 v186, v174, v186 :: v_dual_fmac_f32 v159, 0x3f2c7751, v88
	v_dual_add_f32 v148, v148, v183 :: v_dual_add_f32 v189, v205, v189
	s_delay_alu instid0(VALU_DEP_3) | instskip(NEXT) | instid1(VALU_DEP_3)
	v_add_f32_e32 v146, v146, v193
	v_dual_mul_f32 v206, 0x3eb8f4ab, v92 :: v_dual_add_f32 v159, v159, v175
	v_mul_f32_e32 v171, 0x3f2c7751, v98
	s_delay_alu instid0(VALU_DEP_4) | instskip(SKIP_4) | instid1(VALU_DEP_4)
	v_dual_add_f32 v149, v149, v186 :: v_dual_add_f32 v186, v190, v189
	v_fmamk_f32 v183, v84, 0x3f65296c, v139
	v_fmamk_f32 v175, v85, 0x3f6eb680, v150
	;; [unrolled: 1-line block ×3, first 2 shown]
	v_dual_mul_f32 v205, 0xbf7ee86f, v94 :: v_dual_fmamk_f32 v190, v84, 0xbf7ee86f, v119
	v_add_f32_e32 v180, v183, v180
	s_delay_alu instid0(VALU_DEP_4)
	v_dual_mul_f32 v174, 0xbeb8f4ab, v96 :: v_dual_add_f32 v175, v175, v181
	v_fmamk_f32 v181, v86, 0x3f65296c, v147
	v_fmamk_f32 v196, v86, 0xbf4c4adb, v121
	v_fma_f32 v153, 0x3ee437d1, v85, -v153
	v_add_f32_e32 v190, v190, v194
	v_add_f32_e32 v160, v160, v175
	;; [unrolled: 1-line block ×3, first 2 shown]
	v_fmamk_f32 v195, v85, 0xbf1a4643, v124
	v_dual_mul_f32 v106, 0xbf763a35, v92 :: v_dual_mul_f32 v173, 0xbf763a35, v98
	v_dual_mul_f32 v203, 0x3ee437d1, v93 :: v_dual_add_f32 v196, v196, v199
	s_delay_alu instid0(VALU_DEP_3)
	v_dual_add_f32 v195, v195, v198 :: v_dual_fmamk_f32 v198, v86, 0x3f7ee86f, v157
	v_fmamk_f32 v169, v88, 0xbe3c28d5, v154
	v_fma_f32 v208, 0xbe8c1d8e, v87, -v161
	v_fma_f32 v155, 0xbf59a7d5, v85, -v155
	v_dual_add_f32 v153, v153, v162 :: v_dual_fmamk_f32 v162, v83, 0x3f6eb680, v122
	v_dual_fmamk_f32 v199, v85, 0xbf7ba420, v188 :: v_dual_add_f32 v198, v198, v201
	v_dual_add_f32 v184, v169, v184 :: v_dual_mul_f32 v169, 0xbe8c1d8e, v99
	v_dual_add_f32 v200, v200, v204 :: v_dual_add_f32 v79, v30, v46
	v_mul_f32_e32 v110, 0x3f3d2fb0, v91
	v_dual_fmamk_f32 v168, v87, 0xbf7ba420, v71 :: v_dual_add_f32 v191, v208, v191
	s_delay_alu instid0(VALU_DEP_4)
	v_dual_add_f32 v199, v199, v202 :: v_dual_fmamk_f32 v202, v86, 0xbf763a35, v169
	v_fma_f32 v150, 0x3f6eb680, v85, -v150
	v_mul_f32_e32 v161, 0x3f3d2fb0, v97
	v_dual_fmamk_f32 v188, v84, 0x3e3c28d5, v140 :: v_dual_add_f32 v155, v155, v165
	v_dual_add_f32 v162, v162, v195 :: v_dual_fmamk_f32 v165, v83, 0xbe8c1d8e, v173
	v_fma_f32 v173, 0xbe8c1d8e, v83, -v173
	v_fmac_f32_e32 v147, 0xbf65296c, v86
	v_dual_mul_f32 v133, 0xbf59a7d5, v95 :: v_dual_mul_f32 v152, 0xbf59a7d5, v93
	v_dual_add_f32 v150, v150, v191 :: v_dual_add_f32 v181, v188, v181
	v_fmac_f32_e32 v140, 0xbe3c28d5, v84
	v_fmamk_f32 v188, v84, 0xbf2c7751, v161
	v_dual_add_f32 v148, v173, v148 :: v_dual_add_f32 v147, v147, v159
	v_fmac_f32_e32 v151, 0xbf06c442, v86
	v_dual_mul_f32 v143, 0xbe3c28d5, v98 :: v_dual_mul_f32 v116, 0xbe3c28d5, v96
	v_fmac_f32_e32 v157, 0xbf7ee86f, v86
	s_delay_alu instid0(VALU_DEP_4) | instskip(NEXT) | instid1(VALU_DEP_4)
	v_dual_fmamk_f32 v191, v82, 0x3f06c442, v133 :: v_dual_add_f32 v140, v140, v147
	v_add_f32_e32 v151, v151, v163
	v_fmamk_f32 v163, v84, 0x3f763a35, v167
	v_fma_f32 v142, 0x3ee437d1, v83, -v142
	s_delay_alu instid0(VALU_DEP_4) | instskip(SKIP_1) | instid1(VALU_DEP_4)
	v_add_f32_e32 v180, v191, v180
	v_dual_fmac_f32 v139, 0xbf65296c, v84 :: v_dual_add_f32 v58, v62, v58
	v_dual_add_f32 v163, v163, v198 :: v_dual_fmamk_f32 v198, v82, 0xbf7ee86f, v134
	v_add_f32_e32 v157, v157, v185
	v_dual_fmamk_f32 v185, v83, 0xbf7ba420, v143 :: v_dual_add_f32 v142, v142, v150
	v_dual_mul_f32 v138, 0x3f7ee86f, v96 :: v_dual_mul_f32 v131, 0x3f7ee86f, v98
	v_dual_add_f32 v187, v168, v207 :: v_dual_mul_f32 v168, 0x3f763a35, v101
	v_dual_mul_f32 v207, 0x3f6eb680, v91 :: v_dual_add_f32 v184, v202, v184
	s_delay_alu instid0(VALU_DEP_4)
	v_add_f32_e32 v177, v185, v177
	v_dual_add_f32 v139, v139, v146 :: v_dual_fmamk_f32 v146, v82, 0x3e3c28d5, v112
	v_fmamk_f32 v175, v83, 0xbf59a7d5, v192
	v_fma_f32 v192, 0xbf59a7d5, v83, -v192
	v_dual_mul_f32 v135, 0xbf06c442, v96 :: v_dual_mul_f32 v156, 0xbf06c442, v94
	v_dual_fmamk_f32 v201, v85, 0xbe8c1d8e, v168 :: v_dual_add_f32 v184, v188, v184
	v_fmamk_f32 v185, v83, 0x3f3d2fb0, v171
	s_delay_alu instid0(VALU_DEP_4)
	v_dual_add_f32 v149, v192, v149 :: v_dual_fmamk_f32 v192, v81, 0x3f3d2fb0, v120
	v_fmamk_f32 v189, v83, 0x3dbcf732, v131
	v_add_f32_e32 v181, v198, v181
	v_fmamk_f32 v198, v82, 0x3eb8f4ab, v158
	v_dual_mul_f32 v125, 0xbf1a4643, v93 :: v_dual_mul_f32 v118, 0xbf1a4643, v91
	v_add_f32_e32 v187, v201, v187
	v_dual_mul_f32 v201, 0xbf06c442, v92 :: v_dual_add_f32 v182, v189, v182
	s_delay_alu instid0(VALU_DEP_4)
	v_dual_fmamk_f32 v189, v81, 0xbf59a7d5, v135 :: v_dual_add_f32 v184, v198, v184
	v_fmamk_f32 v159, v84, 0x3eb8f4ab, v115
	v_fma_f32 v143, 0xbf7ba420, v83, -v143
	v_dual_fmamk_f32 v173, v77, 0xbf1a4643, v129 :: v_dual_add_f32 v54, v58, v54
	v_fmamk_f32 v150, v81, 0xbf7ba420, v116
	v_add_f32_e32 v160, v189, v160
	v_add_f32_e32 v159, v159, v196
	v_add_f32_e32 v143, v143, v153
	v_dual_fmamk_f32 v153, v81, 0xbf1a4643, v166 :: v_dual_add_f32 v50, v54, v50
	v_fmamk_f32 v194, v80, 0xbf4c4adb, v125
	v_dual_fmamk_f32 v189, v81, 0xbe8c1d8e, v211 :: v_dual_add_f32 v150, v150, v162
	v_add_f32_e32 v165, v165, v197
	s_delay_alu instid0(VALU_DEP_3)
	v_dual_fmamk_f32 v197, v81, 0x3dbcf732, v138 :: v_dual_add_f32 v180, v194, v180
	v_add_f32_e32 v42, v50, v42
	v_mul_f32_e32 v202, 0xbf59a7d5, v91
	v_add_f32_e32 v146, v146, v159
	v_dual_add_f32 v175, v175, v199 :: v_dual_fmamk_f32 v162, v77, 0x3ee437d1, v109
	v_fmamk_f32 v199, v82, 0x3f2c7751, v111
	v_add_f32_e32 v177, v197, v177
	v_dual_fmamk_f32 v197, v81, 0x3f6eb680, v174 :: v_dual_add_f32 v42, v42, v46
	v_fmamk_f32 v196, v78, 0xbf2c7751, v110
	v_fma_f32 v138, 0x3dbcf732, v81, -v138
	v_fmac_f32_e32 v110, 0x3f2c7751, v78
	v_dual_fmamk_f32 v183, v84, 0xbf06c442, v209 :: v_dual_add_f32 v190, v199, v190
	s_delay_alu instid0(VALU_DEP_3) | instskip(SKIP_1) | instid1(VALU_DEP_3)
	v_dual_fmac_f32 v209, 0x3f06c442, v84 :: v_dual_add_f32 v138, v138, v143
	v_dual_fmamk_f32 v199, v80, 0x3e3c28d5, v108 :: v_dual_add_f32 v38, v42, v38
	v_dual_mul_f32 v204, 0x3dbcf732, v93 :: v_dual_add_f32 v183, v183, v200
	v_add_f32_e32 v185, v185, v187
	s_delay_alu instid0(VALU_DEP_4)
	v_add_f32_e32 v186, v209, v186
	v_add_f32_e32 v182, v192, v182
	v_dual_fmamk_f32 v192, v79, 0xbf7ba420, v114 :: v_dual_add_f32 v153, v153, v165
	v_dual_fmamk_f32 v165, v79, 0x3f3d2fb0, v113 :: v_dual_add_f32 v34, v38, v34
	v_fmamk_f32 v191, v82, 0xbf763a35, v176
	v_fmac_f32_e32 v176, 0x3f763a35, v82
	v_fmac_f32_e32 v167, 0xbf763a35, v84
	v_dual_fmamk_f32 v147, v82, 0x3f4c4adb, v164 :: v_dual_add_f32 v42, v192, v182
	v_fmac_f32_e32 v164, 0xbf4c4adb, v82
	s_delay_alu instid0(VALU_DEP_3)
	v_dual_add_f32 v176, v176, v186 :: v_dual_add_f32 v157, v167, v157
	v_fmac_f32_e32 v134, 0x3f7ee86f, v82
	v_fmamk_f32 v186, v80, 0xbf65296c, v203
	v_dual_add_f32 v46, v165, v150 :: v_dual_add_f32 v183, v191, v183
	v_fma_f32 v166, 0xbf1a4643, v81, -v166
	v_fmamk_f32 v193, v79, 0xbf1a4643, v128
	v_add_f32_e32 v175, v189, v175
	v_dual_add_f32 v157, v164, v157 :: v_dual_fmamk_f32 v164, v78, 0x3e3c28d5, v170
	v_fmac_f32_e32 v170, 0xbe3c28d5, v78
	v_fmamk_f32 v189, v77, 0xbe8c1d8e, v106
	v_fma_f32 v54, 0xbf1a4643, v79, -v128
	v_fma_f32 v128, 0x3dbcf732, v87, -v132
	v_add_f32_e32 v132, v186, v183
	v_dual_add_f32 v59, v63, v59 :: v_dual_add_f32 v148, v166, v148
	v_fmamk_f32 v166, v77, 0xbf7ba420, v172
	v_fma_f32 v135, 0xbf59a7d5, v81, -v135
	v_fma_f32 v200, 0xbe8c1d8e, v81, -v211
	s_delay_alu instid0(VALU_DEP_4)
	v_add_f32_e32 v55, v59, v55
	v_fma_f32 v58, 0x3ee437d1, v79, -v212
	v_fma_f32 v50, 0x3f3d2fb0, v77, -v127
	v_add_f32_e32 v135, v135, v142
	v_add_f32_e32 v149, v200, v149
	v_dual_add_f32 v51, v55, v51 :: v_dual_fmamk_f32 v188, v80, 0x3eb8f4ab, v126
	v_dual_add_f32 v147, v147, v163 :: v_dual_fmamk_f32 v194, v78, 0x3f06c442, v202
	s_delay_alu instid0(VALU_DEP_4) | instskip(NEXT) | instid1(VALU_DEP_3)
	v_add_f32_e32 v54, v54, v135
	v_dual_add_f32 v43, v51, v43 :: v_dual_fmamk_f32 v198, v80, 0x3f06c442, v152
	v_fmamk_f32 v163, v80, 0xbf2c7751, v107
	v_dual_fmamk_f32 v195, v77, 0x3f3d2fb0, v127 :: v_dual_add_f32 v134, v134, v140
	s_delay_alu instid0(VALU_DEP_3) | instskip(SKIP_2) | instid1(VALU_DEP_3)
	v_add_f32_e32 v43, v43, v47
	v_dual_fmamk_f32 v187, v79, 0x3f6eb680, v130 :: v_dual_add_f32 v160, v193, v160
	v_dual_add_f32 v185, v197, v185 :: v_dual_fmac_f32 v126, 0xbeb8f4ab, v80
	v_add_f32_e32 v39, v43, v39
	v_fmamk_f32 v197, v79, 0xbf59a7d5, v156
	v_fmamk_f32 v200, v79, 0x3ee437d1, v212
	v_dual_fmamk_f32 v167, v78, 0x3f4c4adb, v118 :: v_dual_add_f32 v38, v187, v177
	v_fmamk_f32 v142, v77, 0x3f6eb680, v206
	v_fmamk_f32 v140, v80, 0x3f7ee86f, v204
	;; [unrolled: 1-line block ×3, first 2 shown]
	v_fma_f32 v59, 0x3f6eb680, v77, -v206
	v_fma_f32 v51, 0x3f6eb680, v79, -v130
	v_add_f32_e32 v35, v39, v35
	v_dual_add_f32 v43, v199, v190 :: v_dual_fmac_f32 v108, 0xbe3c28d5, v80
	v_dual_add_f32 v130, v198, v147 :: v_dual_add_f32 v47, v163, v146
	v_add_f32_e32 v146, v34, v30
	v_add_f32_e32 v58, v58, v149
	;; [unrolled: 1-line block ×3, first 2 shown]
	v_dual_fmamk_f32 v143, v79, 0x3dbcf732, v205 :: v_dual_add_f32 v34, v173, v38
	v_fma_f32 v62, 0xbf59a7d5, v79, -v156
	v_dual_fmac_f32 v133, 0xbf06c442, v82 :: v_dual_add_f32 v140, v140, v184
	v_dual_add_f32 v147, v35, v31 :: v_dual_fmac_f32 v112, 0xbe3c28d5, v82
	v_add_f32_e32 v35, v167, v39
	v_add_f32_e32 v39, v159, v43
	;; [unrolled: 1-line block ×3, first 2 shown]
	v_dual_fmamk_f32 v193, v77, 0xbf59a7d5, v201 :: v_dual_add_f32 v38, v162, v42
	v_fmac_f32_e32 v203, 0x3f65296c, v80
	v_fma_f32 v55, 0xbf1a4643, v77, -v129
	v_add_f32_e32 v143, v143, v185
	v_fmac_f32_e32 v125, 0x3f4c4adb, v80
	v_dual_add_f32 v62, v62, v148 :: v_dual_add_f32 v133, v133, v139
	v_add_f32_e32 v126, v126, v134
	v_add_f32_e32 v51, v51, v138
	;; [unrolled: 1-line block ×5, first 2 shown]
	v_fmac_f32_e32 v152, 0xbf06c442, v80
	v_fmac_f32_e32 v118, 0xbf4c4adb, v78
	v_fmamk_f32 v191, v78, 0x3f763a35, v2
	v_fma_f32 v127, 0x3dbcf732, v83, -v131
	v_add_f32_e32 v42, v166, v129
	v_dual_add_f32 v148, v152, v157 :: v_dual_add_f32 v129, v46, v18
	v_add_f32_e32 v18, v193, v143
	v_add_f32_e32 v125, v125, v133
	v_dual_add_f32 v133, v147, v27 :: v_dual_fmac_f32 v2, 0xbf763a35, v78
	v_add_f32_e32 v27, v191, v47
	v_fma_f32 v63, 0xbf7ba420, v77, -v172
	v_fmac_f32_e32 v119, 0x3f7ee86f, v84
	s_delay_alu instid0(VALU_DEP_4) | instskip(SKIP_1) | instid1(VALU_DEP_4)
	v_add_f32_e32 v47, v133, v23
	v_dual_fmamk_f32 v139, v78, 0xbeb8f4ab, v207 :: v_dual_add_f32 v30, v195, v160
	v_add_f32_e32 v46, v63, v62
	s_delay_alu instid0(VALU_DEP_3) | instskip(SKIP_2) | instid1(VALU_DEP_3)
	v_dual_add_f32 v62, v129, v14 :: v_dual_add_f32 v47, v47, v19
	v_fmac_f32_e32 v121, 0x3f4c4adb, v86
	v_dual_add_f32 v131, v200, v175 :: v_dual_add_f32 v14, v59, v58
	v_dual_add_f32 v58, v62, v10 :: v_dual_add_f32 v63, v47, v15
	v_fmac_f32_e32 v123, 0xbf7ee86f, v88
	v_add_f32_e32 v31, v196, v180
	s_delay_alu instid0(VALU_DEP_4) | instskip(NEXT) | instid1(VALU_DEP_4)
	v_dual_fmac_f32 v207, 0x3eb8f4ab, v78 :: v_dual_add_f32 v22, v142, v131
	v_add_f32_e32 v59, v63, v11
	v_add_f32_e32 v23, v139, v132
	;; [unrolled: 1-line block ×4, first 2 shown]
	s_delay_alu instid0(VALU_DEP_4)
	v_dual_add_f32 v6, v58, v6 :: v_dual_add_f32 v7, v59, v7
	global_inv scope:SCOPE_SE
	v_add_f32_e32 v10, v50, v54
	v_mul_f32_e32 v54, 0xbf1a4643, v97
	ds_store_2addr_b64 v76, v[30:31], v[34:35] offset0:4 offset1:5
	ds_store_2addr_b64 v76, v[38:39], v[26:27] offset0:6 offset1:7
	;; [unrolled: 1-line block ×3, first 2 shown]
	ds_store_2addr_b64 v76, v[6:7], v[42:43] offset1:1
	v_mul_f32_e32 v26, 0x3f6eb680, v102
	v_add_f32_e32 v6, v127, v155
	v_fma_f32 v18, 0x3f3d2fb0, v81, -v120
	v_dual_add_f32 v19, v128, v178 :: v_dual_fmac_f32 v154, 0x3e3c28d5, v88
	v_fma_f32 v23, 0xbf1a4643, v85, -v124
	v_fmamk_f32 v31, v90, 0xbeb8f4ab, v26
	v_mul_f32_e32 v34, 0xbf59a7d5, v100
	v_add_f32_e32 v6, v18, v6
	v_fma_f32 v18, 0xbf7ba420, v79, -v114
	v_mul_f32_e32 v42, 0x3f3d2fb0, v99
	v_add_f32_e32 v19, v23, v19
	v_fma_f32 v23, 0x3f6eb680, v83, -v122
	v_add_f32_e32 v31, v31, v144
	v_dual_fmamk_f32 v39, v88, 0x3f06c442, v34 :: v_dual_add_f32 v6, v18, v6
	v_fmac_f32_e32 v161, 0x3f2c7751, v84
	v_mul_f32_e32 v30, 0xbf06c442, v103
	s_delay_alu instid0(VALU_DEP_3)
	v_dual_fmac_f32 v26, 0x3eb8f4ab, v90 :: v_dual_add_f32 v31, v39, v31
	v_fmamk_f32 v39, v86, 0xbf2c7751, v42
	v_fmac_f32_e32 v42, 0x3f2c7751, v86
	v_add_f32_e32 v18, v23, v19
	v_fma_f32 v23, 0x3ee437d1, v77, -v109
	v_fmamk_f32 v35, v87, 0xbf59a7d5, v30
	v_fma_f32 v30, 0xbf59a7d5, v87, -v30
	v_add_f32_e32 v26, v26, v70
	v_fmac_f32_e32 v34, 0xbf06c442, v88
	v_dual_add_f32 v6, v23, v6 :: v_dual_mul_f32 v23, 0x3eb8f4ab, v104
	v_add_f32_e32 v7, v119, v151
	v_fmac_f32_e32 v169, 0x3f763a35, v86
	s_delay_alu instid0(VALU_DEP_4) | instskip(NEXT) | instid1(VALU_DEP_4)
	v_dual_add_f32 v26, v34, v26 :: v_dual_fmac_f32 v115, 0xbeb8f4ab, v84
	v_fmamk_f32 v27, v89, 0x3f6eb680, v23
	v_fma_f32 v23, 0x3f6eb680, v89, -v23
	s_delay_alu instid0(VALU_DEP_3) | instskip(SKIP_2) | instid1(VALU_DEP_4)
	v_dual_fmac_f32 v107, 0x3f2c7751, v80 :: v_dual_add_f32 v26, v42, v26
	v_fmac_f32_e32 v204, 0xbf7ee86f, v80
	v_mul_f32_e32 v38, 0x3f2c7751, v101
	v_dual_add_f32 v23, v23, v141 :: v_dual_fmac_f32 v158, 0xbeb8f4ab, v82
	v_add_f32_e32 v27, v27, v145
	v_dual_mul_f32 v43, 0xbf4c4adb, v98 :: v_dual_add_f32 v50, v55, v51
	s_delay_alu instid0(VALU_DEP_3) | instskip(SKIP_1) | instid1(VALU_DEP_4)
	v_add_f32_e32 v30, v30, v23
	v_add_f32_e32 v22, v123, v179
	v_dual_add_f32 v27, v35, v27 :: v_dual_fmac_f32 v202, 0xbf06c442, v78
	v_fmamk_f32 v35, v85, 0x3f3d2fb0, v38
	s_delay_alu instid0(VALU_DEP_3) | instskip(SKIP_2) | instid1(VALU_DEP_4)
	v_dual_mul_f32 v55, 0x3f65296c, v96 :: v_dual_add_f32 v22, v121, v22
	v_add_f32_e32 v31, v39, v31
	v_fmamk_f32 v39, v84, 0x3f4c4adb, v54
	v_add_f32_e32 v27, v35, v27
	v_fmamk_f32 v35, v83, 0xbf1a4643, v43
	v_add_f32_e32 v19, v115, v22
	v_fma_f32 v22, 0xbf7ba420, v81, -v116
	v_dual_add_f32 v149, v203, v176 :: v_dual_mul_f32 v58, 0x3ee437d1, v95
	s_delay_alu instid0(VALU_DEP_4) | instskip(NEXT) | instid1(VALU_DEP_3)
	v_add_f32_e32 v27, v35, v27
	v_dual_add_f32 v19, v112, v19 :: v_dual_add_f32 v18, v22, v18
	v_fma_f32 v22, 0x3f3d2fb0, v79, -v113
	v_fmamk_f32 v35, v81, 0x3ee437d1, v55
	v_mul_f32_e32 v59, 0xbf763a35, v94
	s_delay_alu instid0(VALU_DEP_4) | instskip(NEXT) | instid1(VALU_DEP_4)
	v_add_f32_e32 v19, v107, v19
	v_dual_add_f32 v31, v39, v31 :: v_dual_add_f32 v18, v22, v18
	v_fma_f32 v22, 0xbe8c1d8e, v77, -v106
	v_fmamk_f32 v39, v82, 0xbf65296c, v58
	v_dual_add_f32 v15, v207, v149 :: v_dual_mul_f32 v62, 0x3dbcf732, v91
	v_fma_f32 v3, 0xbf1a4643, v89, -v3
	s_delay_alu instid0(VALU_DEP_4)
	v_add_f32_e32 v18, v22, v18
	v_add_f32_e32 v22, v35, v27
	v_fmamk_f32 v27, v79, 0xbe8c1d8e, v59
	v_mul_f32_e32 v35, 0xbe8c1d8e, v93
	v_add_f32_e32 v47, v170, v148
	v_add_f32_e32 v31, v39, v31
	;; [unrolled: 1-line block ×3, first 2 shown]
	s_delay_alu instid0(VALU_DEP_4)
	v_dual_add_f32 v22, v27, v22 :: v_dual_fmamk_f32 v27, v80, 0x3f763a35, v35
	v_fma_f32 v38, 0x3f3d2fb0, v85, -v38
	v_fmac_f32_e32 v117, 0xbf4c4adb, v90
	v_add_f32_e32 v51, v118, v126
	v_add_f32_e32 v19, v2, v19
	;; [unrolled: 1-line block ×3, first 2 shown]
	v_fmamk_f32 v31, v78, 0xbf7ee86f, v62
	v_fmac_f32_e32 v54, 0xbf4c4adb, v84
	v_fmac_f32_e32 v105, 0x3f65296c, v78
	v_fma_f32 v34, 0xbf1a4643, v83, -v43
	s_delay_alu instid0(VALU_DEP_4) | instskip(SKIP_3) | instid1(VALU_DEP_3)
	v_dual_fmac_f32 v58, 0x3f65296c, v82 :: v_dual_add_f32 v23, v31, v27
	v_fma_f32 v31, 0xbf7ba420, v87, -v71
	v_dual_add_f32 v27, v38, v30 :: v_dual_add_f32 v30, v117, v137
	v_dual_add_f32 v26, v54, v26 :: v_dual_mul_f32 v39, 0x3f7ee86f, v92
	v_add_f32_e32 v3, v31, v3
	v_fma_f32 v31, 0xbe8c1d8e, v85, -v168
	s_delay_alu instid0(VALU_DEP_4) | instskip(SKIP_2) | instid1(VALU_DEP_4)
	v_add_f32_e32 v30, v154, v30
	v_add_f32_e32 v27, v34, v27
	v_fma_f32 v34, 0x3ee437d1, v81, -v55
	v_dual_add_f32 v26, v58, v26 :: v_dual_add_f32 v3, v31, v3
	v_fma_f32 v31, 0x3f3d2fb0, v83, -v171
	s_delay_alu instid0(VALU_DEP_3) | instskip(SKIP_2) | instid1(VALU_DEP_4)
	v_dual_add_f32 v30, v169, v30 :: v_dual_add_f32 v27, v34, v27
	v_fma_f32 v34, 0xbe8c1d8e, v79, -v59
	v_fmac_f32_e32 v35, 0xbf763a35, v80
	v_add_f32_e32 v3, v31, v3
	v_fma_f32 v31, 0x3f6eb680, v81, -v174
	v_add_f32_e32 v30, v161, v30
	v_fmamk_f32 v63, v77, 0x3dbcf732, v39
	v_dual_add_f32 v27, v34, v27 :: v_dual_add_f32 v34, v35, v26
	s_delay_alu instid0(VALU_DEP_4)
	v_add_f32_e32 v3, v31, v3
	v_fma_f32 v31, 0x3dbcf732, v79, -v205
	v_add_f32_e32 v30, v158, v30
	v_fma_f32 v26, 0x3dbcf732, v77, -v39
	v_dual_fmac_f32 v62, 0x3f7ee86f, v78 :: v_dual_add_f32 v11, v110, v125
	v_add_f32_e32 v22, v63, v22
	v_add_f32_e32 v3, v31, v3
	v_fma_f32 v31, 0xbf59a7d5, v77, -v201
	v_fmac_f32_e32 v111, 0xbf2c7751, v82
	v_add_f32_e32 v30, v204, v30
	v_add_f32_e32 v26, v26, v27
	s_delay_alu instid0(VALU_DEP_4) | instskip(NEXT) | instid1(VALU_DEP_4)
	v_dual_add_f32 v27, v62, v34 :: v_dual_add_f32 v2, v31, v3
	v_add_f32_e32 v7, v111, v7
	s_delay_alu instid0(VALU_DEP_4) | instskip(NEXT) | instid1(VALU_DEP_2)
	v_add_f32_e32 v3, v202, v30
	v_add_f32_e32 v7, v108, v7
	s_delay_alu instid0(VALU_DEP_1)
	v_add_f32_e32 v7, v105, v7
	ds_store_2addr_b64 v76, v[22:23], v[26:27] offset0:8 offset1:9
	ds_store_2addr_b64 v76, v[18:19], v[6:7] offset0:10 offset1:11
	;; [unrolled: 1-line block ×4, first 2 shown]
	ds_store_b64 v76, v[46:47] offset:128
	v_cmpx_gt_u32_e32 7, v64
	s_cbranch_execz .LBB0_18
; %bb.17:
	v_dual_add_f32 v27, v69, v61 :: v_dual_sub_f32 v34, v52, v8
	v_dual_sub_f32 v39, v60, v68 :: v_dual_add_f32 v176, v5, v57
	s_delay_alu instid0(VALU_DEP_2) | instskip(SKIP_1) | instid1(VALU_DEP_3)
	v_dual_sub_f32 v31, v56, v4 :: v_dual_mul_f32 v76, 0xbf7ba420, v27
	v_dual_add_f32 v171, v9, v53 :: v_dual_sub_f32 v30, v48, v12
	v_dual_mul_f32 v78, 0x3f6eb680, v176 :: v_dual_add_f32 v169, v17, v41
	s_delay_alu instid0(VALU_DEP_3) | instskip(SKIP_1) | instid1(VALU_DEP_2)
	v_dual_fmamk_f32 v2, v39, 0x3e3c28d5, v76 :: v_dual_add_f32 v43, v68, v60
	v_dual_add_f32 v168, v13, v49 :: v_dual_sub_f32 v35, v40, v16
	v_dual_mul_f32 v79, 0xbf59a7d5, v171 :: v_dual_add_f32 v2, v1, v2
	s_delay_alu instid0(VALU_DEP_4) | instskip(SKIP_1) | instid1(VALU_DEP_4)
	v_dual_fmamk_f32 v3, v31, 0xbeb8f4ab, v78 :: v_dual_add_f32 v26, v21, v45
	v_dual_sub_f32 v38, v44, v20 :: v_dual_sub_f32 v135, v61, v69
	v_dual_mul_f32 v80, 0x3f3d2fb0, v168 :: v_dual_add_f32 v159, v25, v37
	s_delay_alu instid0(VALU_DEP_4) | instskip(NEXT) | instid1(VALU_DEP_4)
	v_dual_fmamk_f32 v6, v34, 0x3f06c442, v79 :: v_dual_sub_f32 v149, v53, v9
	v_dual_add_f32 v2, v3, v2 :: v_dual_mul_f32 v85, 0xbf1a4643, v169
	s_delay_alu instid0(VALU_DEP_4) | instskip(NEXT) | instid1(VALU_DEP_4)
	v_dual_mul_f32 v84, 0xbe3c28d5, v135 :: v_dual_add_f32 v51, v12, v48
	v_dual_fmamk_f32 v3, v30, 0xbf2c7751, v80 :: v_dual_sub_f32 v136, v57, v5
	s_delay_alu instid0(VALU_DEP_3) | instskip(NEXT) | instid1(VALU_DEP_3)
	v_add_f32_e32 v2, v6, v2
	v_dual_add_f32 v46, v4, v56 :: v_dual_fmamk_f32 v7, v43, 0xbf7ba420, v84
	v_mul_f32_e32 v82, 0x3ee437d1, v26
	v_dual_fmamk_f32 v6, v35, 0x3f4c4adb, v85 :: v_dual_sub_f32 v157, v41, v17
	v_mul_f32_e32 v83, 0x3eb8f4ab, v136
	s_delay_alu instid0(VALU_DEP_4) | instskip(NEXT) | instid1(VALU_DEP_4)
	v_dual_add_f32 v7, v0, v7 :: v_dual_add_f32 v2, v3, v2
	v_fmamk_f32 v3, v38, 0xbf65296c, v82
	v_mul_f32_e32 v77, 0xbf06c442, v149
	v_dual_mul_f32 v81, 0xbe8c1d8e, v159 :: v_dual_sub_f32 v42, v36, v24
	s_delay_alu instid0(VALU_DEP_4) | instskip(SKIP_3) | instid1(VALU_DEP_3)
	v_add_f32_e32 v2, v6, v2
	v_dual_fmamk_f32 v6, v46, 0x3f6eb680, v83 :: v_dual_sub_f32 v47, v32, v28
	v_add_f32_e32 v50, v8, v52
	v_sub_f32_e32 v154, v49, v13
	v_dual_add_f32 v2, v3, v2 :: v_dual_add_f32 v3, v6, v7
	v_fmamk_f32 v7, v42, 0x3f763a35, v81
	s_delay_alu instid0(VALU_DEP_4) | instskip(NEXT) | instid1(VALU_DEP_4)
	v_dual_fmamk_f32 v6, v50, 0xbf59a7d5, v77 :: v_dual_add_f32 v55, v20, v44
	v_dual_mul_f32 v63, 0x3f2c7751, v154 :: v_dual_add_f32 v162, v29, v33
	v_dual_sub_f32 v150, v45, v21 :: v_dual_mul_f32 v103, 0xbf59a7d5, v27
	s_delay_alu instid0(VALU_DEP_2) | instskip(SKIP_1) | instid1(VALU_DEP_4)
	v_dual_add_f32 v3, v6, v3 :: v_dual_fmamk_f32 v6, v51, 0x3f3d2fb0, v63
	v_dual_sub_f32 v161, v33, v29 :: v_dual_add_f32 v54, v16, v40
	v_mul_f32_e32 v87, 0x3dbcf732, v162
	s_delay_alu instid0(VALU_DEP_3) | instskip(SKIP_1) | instid1(VALU_DEP_3)
	v_dual_mul_f32 v70, 0xbf4c4adb, v157 :: v_dual_add_f32 v3, v6, v3
	v_dual_add_f32 v2, v7, v2 :: v_dual_mul_f32 v89, 0x3ee437d1, v176
	v_dual_fmamk_f32 v7, v47, 0xbf7ee86f, v87 :: v_dual_add_nc_u32 v58, 17, v64
	s_delay_alu instid0(VALU_DEP_3) | instskip(SKIP_2) | instid1(VALU_DEP_3)
	v_fmamk_f32 v6, v54, 0xbf1a4643, v70
	v_dual_mul_f32 v71, 0x3f65296c, v150 :: v_dual_sub_f32 v160, v37, v25
	v_dual_mul_f32 v94, 0xbf1a4643, v168 :: v_dual_mul_f32 v105, 0xbf1a4643, v27
	v_add_f32_e32 v6, v6, v3
	s_delay_alu instid0(VALU_DEP_3)
	v_dual_fmamk_f32 v10, v55, 0x3ee437d1, v71 :: v_dual_add_f32 v59, v28, v32
	v_add_f32_e32 v3, v7, v2
	v_dual_fmamk_f32 v7, v31, 0xbf65296c, v89 :: v_dual_add_f32 v62, v24, v36
	v_mul_f32_e32 v86, 0xbf763a35, v160
	v_mul_f32_e32 v93, 0x3dbcf732, v169
	v_dual_fmamk_f32 v11, v39, 0x3f06c442, v103 :: v_dual_add_f32 v2, v10, v6
	v_mul_f32_e32 v107, 0xbf06c442, v135
	s_delay_alu instid0(VALU_DEP_4) | instskip(NEXT) | instid1(VALU_DEP_4)
	v_dual_fmamk_f32 v10, v62, 0xbe8c1d8e, v86 :: v_dual_mul_f32 v97, 0xbe8c1d8e, v162
	v_fmamk_f32 v15, v35, 0xbf7ee86f, v93
	v_mul_f32_e32 v88, 0x3f7ee86f, v161
	v_mul_f32_e32 v108, 0x3f65296c, v136
	s_delay_alu instid0(VALU_DEP_4) | instskip(SKIP_1) | instid1(VALU_DEP_4)
	v_dual_add_f32 v2, v10, v2 :: v_dual_mul_f32 v109, 0xbf7ee86f, v149
	v_mul_f32_e32 v90, 0x3dbcf732, v171
	v_fmamk_f32 v10, v59, 0x3dbcf732, v88
	s_delay_alu instid0(VALU_DEP_4) | instskip(SKIP_1) | instid1(VALU_DEP_3)
	v_dual_add_f32 v6, v1, v11 :: v_dual_fmamk_f32 v11, v46, 0x3ee437d1, v108
	v_mul_f32_e32 v199, 0xbf7ee86f, v136
	v_dual_mul_f32 v95, 0x3f6eb680, v169 :: v_dual_add_f32 v2, v10, v2
	v_fmamk_f32 v10, v43, 0xbf59a7d5, v107
	s_delay_alu instid0(VALU_DEP_4) | instskip(SKIP_2) | instid1(VALU_DEP_4)
	v_add_f32_e32 v6, v7, v6
	v_dual_mul_f32 v101, 0xbf7ba420, v26 :: v_dual_mul_f32 v130, 0xbf7ba420, v176
	v_mul_f32_e32 v112, 0x3f4c4adb, v154
	v_dual_add_f32 v10, v0, v10 :: v_dual_fmamk_f32 v189, v46, 0x3dbcf732, v199
	v_mul_f32_e32 v146, 0x3f06c442, v136
	v_mul_f32_e32 v117, 0x3f2c7751, v160
	;; [unrolled: 1-line block ×3, first 2 shown]
	s_delay_alu instid0(VALU_DEP_4) | instskip(SKIP_4) | instid1(VALU_DEP_4)
	v_dual_add_f32 v10, v11, v10 :: v_dual_fmamk_f32 v11, v50, 0x3dbcf732, v109
	v_fmamk_f32 v7, v34, 0x3f7ee86f, v90
	v_fmamk_f32 v19, v46, 0xbf59a7d5, v146
	v_mul_f32_e32 v128, 0xbeb8f4ab, v157
	v_dual_mul_f32 v129, 0xbe3c28d5, v150 :: v_dual_mul_f32 v124, 0xbe3c28d5, v160
	v_dual_add_f32 v6, v7, v6 :: v_dual_fmamk_f32 v7, v30, 0xbf4c4adb, v94
	v_mul_f32_e32 v96, 0x3f3d2fb0, v159
	v_dual_add_f32 v10, v11, v10 :: v_dual_mul_f32 v121, 0x3f763a35, v136
	v_fmamk_f32 v11, v51, 0xbf1a4643, v112
	s_delay_alu instid0(VALU_DEP_4) | instskip(SKIP_4) | instid1(VALU_DEP_4)
	v_add_f32_e32 v6, v7, v6
	v_fmamk_f32 v7, v35, 0x3eb8f4ab, v95
	v_mul_f32_e32 v99, 0xbf7ba420, v159
	v_mul_f32_e32 v180, 0xbf65296c, v135
	v_dual_add_f32 v10, v11, v10 :: v_dual_fmamk_f32 v11, v54, 0x3f6eb680, v128
	v_dual_add_f32 v6, v7, v6 :: v_dual_fmamk_f32 v7, v38, 0x3e3c28d5, v101
	v_mul_f32_e32 v138, 0x3ee437d1, v169
	v_mul_f32_e32 v110, 0xbeb8f4ab, v149
	s_delay_alu instid0(VALU_DEP_4)
	v_add_f32_e32 v10, v11, v10
	v_fmamk_f32 v11, v55, 0xbf7ba420, v129
	v_dual_add_f32 v6, v7, v6 :: v_dual_mul_f32 v91, 0x3f6eb680, v171
	v_fmamk_f32 v23, v35, 0x3f65296c, v138
	v_mul_f32_e32 v104, 0xbf763a35, v161
	v_mul_f32_e32 v102, 0xbe8c1d8e, v176
	v_dual_add_f32 v10, v11, v10 :: v_dual_fmamk_f32 v11, v62, 0x3f3d2fb0, v117
	v_fmamk_f32 v7, v42, 0xbf2c7751, v96
	v_mul_f32_e32 v119, 0xbf4c4adb, v135
	v_dual_mul_f32 v111, 0xbf06c442, v154 :: v_dual_fmamk_f32 v18, v31, 0xbf06c442, v140
	s_delay_alu instid0(VALU_DEP_4) | instskip(NEXT) | instid1(VALU_DEP_4)
	v_add_f32_e32 v10, v11, v10
	v_add_f32_e32 v6, v7, v6
	v_fmamk_f32 v11, v59, 0xbe8c1d8e, v104
	v_fmamk_f32 v14, v31, 0xbf763a35, v102
	;; [unrolled: 1-line block ×3, first 2 shown]
	v_mul_f32_e32 v92, 0xbf59a7d5, v168
	v_dual_mul_f32 v120, 0xbf4c4adb, v161 :: v_dual_mul_f32 v181, 0xbf4c4adb, v136
	v_mul_f32_e32 v147, 0xbf1a4643, v159
	s_delay_alu instid0(VALU_DEP_4) | instskip(SKIP_4) | instid1(VALU_DEP_4)
	v_add_f32_e32 v7, v7, v6
	v_fmamk_f32 v6, v39, 0x3f4c4adb, v105
	v_dual_mul_f32 v98, 0x3f3d2fb0, v26 :: v_dual_mul_f32 v141, 0x3f3d2fb0, v171
	v_fmamk_f32 v164, v46, 0xbf1a4643, v181
	v_mul_f32_e32 v122, 0x3f7ee86f, v157
	v_add_f32_e32 v6, v1, v6
	v_mul_f32_e32 v123, 0xbf2c7751, v150
	v_mul_f32_e32 v113, 0x3f65296c, v161
	;; [unrolled: 1-line block ×3, first 2 shown]
	s_delay_alu instid0(VALU_DEP_4)
	v_dual_mul_f32 v127, 0x3f2c7751, v149 :: v_dual_add_f32 v6, v14, v6
	v_fmamk_f32 v14, v34, 0x3eb8f4ab, v91
	v_mul_f32_e32 v125, 0x3f6eb680, v159
	v_mul_f32_e32 v139, 0xbe8c1d8e, v27
	v_mul_f32_e32 v173, 0x3e3c28d5, v149
	v_mul_f32_e32 v186, 0xbf65296c, v157
	v_add_f32_e32 v6, v14, v6
	v_fmamk_f32 v14, v30, 0x3f06c442, v92
	v_mul_f32_e32 v142, 0x3ee437d1, v168
	v_fmac_f32_e32 v97, 0xbf763a35, v47
	v_mul_f32_e32 v196, 0xbf59a7d5, v169
	v_fmac_f32_e32 v79, 0xbf06c442, v34
	v_add_f32_e32 v14, v14, v6
	v_add_f32_e32 v6, v11, v10
	v_fmamk_f32 v10, v43, 0xbf1a4643, v119
	v_fmamk_f32 v178, v35, 0xbf06c442, v196
	v_mul_f32_e32 v144, 0xbf763a35, v135
	v_dual_mul_f32 v145, 0x3dbcf732, v26 :: v_dual_mul_f32 v158, 0x3dbcf732, v27
	s_delay_alu instid0(VALU_DEP_4)
	v_add_f32_e32 v10, v0, v10
	v_add_f32_e32 v11, v15, v14
	v_fmamk_f32 v15, v46, 0xbe8c1d8e, v121
	v_fmamk_f32 v14, v38, 0x3f2c7751, v98
	v_mul_f32_e32 v143, 0xbf7ba420, v169
	v_mul_f32_e32 v115, 0xbe3c28d5, v157
	v_dual_mul_f32 v152, 0x3dbcf732, v159 :: v_dual_mul_f32 v193, 0x3dbcf732, v176
	v_dual_add_f32 v10, v15, v10 :: v_dual_fmamk_f32 v15, v50, 0x3f6eb680, v110
	v_add_f32_e32 v11, v14, v11
	v_fmamk_f32 v14, v42, 0x3e3c28d5, v99
	v_mul_f32_e32 v116, 0x3f7ee86f, v150
	v_mul_f32_e32 v126, 0xbf1a4643, v162
	v_add_f32_e32 v10, v15, v10
	v_fmamk_f32 v15, v51, 0xbf59a7d5, v111
	v_add_f32_e32 v11, v14, v11
	v_mul_f32_e32 v131, 0xbe8c1d8e, v171
	v_mul_f32_e32 v106, 0xbf65296c, v154
	v_add_f32_e32 v60, v0, v60
	v_dual_add_f32 v10, v15, v10 :: v_dual_fmamk_f32 v15, v54, 0x3dbcf732, v122
	v_mul_f32_e32 v167, 0xbf7ee86f, v135
	s_delay_alu instid0(VALU_DEP_4) | instskip(NEXT) | instid1(VALU_DEP_4)
	v_dual_fmamk_f32 v22, v51, 0x3ee437d1, v106 :: v_dual_mul_f32 v185, 0x3ee437d1, v159
	v_add_f32_e32 v56, v60, v56
	s_delay_alu instid0(VALU_DEP_4) | instskip(SKIP_4) | instid1(VALU_DEP_4)
	v_add_f32_e32 v10, v15, v10
	v_fmamk_f32 v15, v55, 0x3f3d2fb0, v123
	v_mul_f32_e32 v137, 0x3f6eb680, v168
	v_mul_f32_e32 v175, 0x3eb8f4ab, v154
	v_dual_mul_f32 v118, 0xbeb8f4ab, v160 :: v_dual_mul_f32 v183, 0xbeb8f4ab, v150
	v_dual_add_f32 v10, v15, v10 :: v_dual_fmamk_f32 v15, v62, 0xbf7ba420, v124
	v_mul_f32_e32 v179, 0x3f4c4adb, v160
	v_mul_f32_e32 v170, 0xbe3c28d5, v136
	v_dual_mul_f32 v132, 0xbf7ba420, v171 :: v_dual_mul_f32 v195, 0xbf7ba420, v168
	s_delay_alu instid0(VALU_DEP_4) | instskip(SKIP_4) | instid1(VALU_DEP_3)
	v_add_f32_e32 v10, v15, v10
	v_fmamk_f32 v15, v59, 0x3ee437d1, v113
	v_fmamk_f32 v14, v47, 0xbf65296c, v100
	v_dual_mul_f32 v155, 0xbf59a7d5, v26 :: v_dual_add_f32 v52, v56, v52
	v_fmac_f32_e32 v81, 0xbf763a35, v42
	v_dual_add_f32 v10, v15, v10 :: v_dual_add_f32 v11, v14, v11
	v_fmamk_f32 v14, v39, 0x3f763a35, v139
	v_fmamk_f32 v15, v43, 0xbe8c1d8e, v144
	v_mul_f32_e32 v188, 0xbf06c442, v150
	v_dual_add_f32 v48, v52, v48 :: v_dual_fmac_f32 v87, 0x3f7ee86f, v47
	s_delay_alu instid0(VALU_DEP_3) | instskip(SKIP_3) | instid1(VALU_DEP_4)
	v_dual_add_f32 v14, v1, v14 :: v_dual_add_f32 v15, v0, v15
	v_mul_f32_e32 v172, 0x3f763a35, v149
	v_mul_f32_e32 v133, 0xbe8c1d8e, v168
	;; [unrolled: 1-line block ×3, first 2 shown]
	v_add_f32_e32 v14, v18, v14
	v_dual_fmamk_f32 v18, v34, 0xbf2c7751, v141 :: v_dual_add_f32 v15, v19, v15
	v_fmamk_f32 v19, v50, 0x3f3d2fb0, v127
	v_mul_f32_e32 v163, 0x3f2c7751, v161
	v_mul_f32_e32 v156, 0xbf1a4643, v176
	s_delay_alu instid0(VALU_DEP_4) | instskip(NEXT) | instid1(VALU_DEP_4)
	v_add_f32_e32 v14, v18, v14
	v_dual_fmamk_f32 v18, v30, 0x3f65296c, v142 :: v_dual_add_f32 v19, v19, v15
	v_dual_add_f32 v61, v1, v61 :: v_dual_mul_f32 v148, 0x3f3d2fb0, v162
	s_delay_alu instid0(VALU_DEP_2) | instskip(NEXT) | instid1(VALU_DEP_2)
	v_dual_mul_f32 v177, 0xbf06c442, v161 :: v_dual_add_f32 v14, v18, v14
	v_dual_fmamk_f32 v18, v35, 0x3e3c28d5, v143 :: v_dual_add_f32 v61, v61, v57
	v_fmamk_f32 v114, v31, 0x3f4c4adb, v156
	v_mul_f32_e32 v166, 0x3ee437d1, v27
	v_mul_f32_e32 v57, 0xbf1a4643, v26
	s_delay_alu instid0(VALU_DEP_4) | instskip(SKIP_4) | instid1(VALU_DEP_4)
	v_add_f32_e32 v14, v18, v14
	v_dual_fmamk_f32 v18, v38, 0xbf7ee86f, v145 :: v_dual_add_f32 v61, v61, v53
	v_fmac_f32_e32 v76, 0xbe3c28d5, v39
	v_fmac_f32_e32 v78, 0x3eb8f4ab, v31
	;; [unrolled: 1-line block ×3, first 2 shown]
	v_add_f32_e32 v14, v18, v14
	v_dual_fmamk_f32 v18, v42, 0x3eb8f4ab, v125 :: v_dual_add_f32 v49, v61, v49
	v_mul_f32_e32 v174, 0x3f763a35, v154
	v_fmac_f32_e32 v82, 0x3f65296c, v38
	v_fmac_f32_e32 v100, 0x3f65296c, v47
	s_delay_alu instid0(VALU_DEP_4) | instskip(SKIP_4) | instid1(VALU_DEP_4)
	v_add_f32_e32 v14, v18, v14
	v_dual_fmamk_f32 v18, v47, 0x3f4c4adb, v126 :: v_dual_add_f32 v41, v49, v41
	v_mul_f32_e32 v192, 0x3f3d2fb0, v27
	v_fmac_f32_e32 v140, 0x3f06c442, v31
	v_fmamk_f32 v60, v38, 0x3f4c4adb, v57
	v_dual_add_f32 v15, v18, v14 :: v_dual_fmamk_f32 v14, v39, 0x3f7ee86f, v158
	v_add_f32_e32 v18, v22, v19
	v_fmamk_f32 v19, v54, 0xbf7ba420, v115
	v_dual_fmamk_f32 v22, v31, 0x3e3c28d5, v130 :: v_dual_add_f32 v41, v41, v45
	s_delay_alu instid0(VALU_DEP_4) | instskip(NEXT) | instid1(VALU_DEP_3)
	v_dual_add_f32 v14, v1, v14 :: v_dual_add_f32 v45, v48, v40
	v_add_f32_e32 v18, v19, v18
	v_fmamk_f32 v19, v55, 0x3dbcf732, v116
	s_delay_alu instid0(VALU_DEP_4) | instskip(NEXT) | instid1(VALU_DEP_4)
	v_dual_add_f32 v37, v41, v37 :: v_dual_mul_f32 v40, 0xbf7ba420, v162
	v_add_f32_e32 v41, v45, v44
	s_delay_alu instid0(VALU_DEP_3) | instskip(SKIP_4) | instid1(VALU_DEP_4)
	v_dual_fmac_f32 v139, 0xbf763a35, v39 :: v_dual_add_f32 v18, v19, v18
	v_fmamk_f32 v19, v62, 0x3f6eb680, v118
	v_add_f32_e32 v14, v22, v14
	v_fmamk_f32 v22, v34, 0xbf763a35, v131
	v_dual_add_f32 v36, v41, v36 :: v_dual_fmac_f32 v141, 0x3f2c7751, v34
	v_add_f32_e32 v18, v19, v18
	s_delay_alu instid0(VALU_DEP_3) | instskip(SKIP_1) | instid1(VALU_DEP_4)
	v_dual_fmamk_f32 v19, v59, 0xbf1a4643, v120 :: v_dual_add_f32 v14, v22, v14
	v_fmamk_f32 v22, v30, 0xbeb8f4ab, v137
	v_dual_mul_f32 v197, 0xbf2c7751, v135 :: v_dual_add_f32 v32, v36, v32
	v_fmac_f32_e32 v137, 0x3eb8f4ab, v30
	s_delay_alu instid0(VALU_DEP_3)
	v_dual_fmac_f32 v143, 0xbe3c28d5, v35 :: v_dual_add_f32 v22, v22, v14
	v_add_f32_e32 v14, v19, v18
	v_fmamk_f32 v18, v43, 0x3dbcf732, v167
	v_dual_fmamk_f32 v165, v51, 0xbe8c1d8e, v174 :: v_dual_add_f32 v28, v32, v28
	v_fmac_f32_e32 v145, 0x3f7ee86f, v38
	v_fmac_f32_e32 v126, 0xbf4c4adb, v47
	s_delay_alu instid0(VALU_DEP_4) | instskip(SKIP_4) | instid1(VALU_DEP_4)
	v_add_f32_e32 v18, v0, v18
	v_dual_add_f32 v19, v23, v22 :: v_dual_fmamk_f32 v22, v38, 0x3f06c442, v155
	v_fmamk_f32 v23, v46, 0xbf7ba420, v170
	v_add_f32_e32 v33, v37, v33
	v_fmamk_f32 v37, v47, 0x3e3c28d5, v40
	v_dual_mul_f32 v134, 0x3f3d2fb0, v169 :: v_dual_add_f32 v19, v22, v19
	v_fmamk_f32 v22, v42, 0xbf4c4adb, v147
	v_dual_add_f32 v18, v23, v18 :: v_dual_fmamk_f32 v23, v50, 0xbe8c1d8e, v172
	v_mul_f32_e32 v169, 0xbe8c1d8e, v169
	v_mul_f32_e32 v49, 0xbf2c7751, v136
	s_delay_alu instid0(VALU_DEP_4) | instskip(NEXT) | instid1(VALU_DEP_4)
	v_dual_add_f32 v19, v22, v19 :: v_dual_add_f32 v24, v28, v24
	v_add_f32_e32 v18, v23, v18
	v_fmamk_f32 v23, v51, 0x3f6eb680, v175
	v_mul_f32_e32 v135, 0xbeb8f4ab, v135
	s_delay_alu instid0(VALU_DEP_4) | instskip(SKIP_1) | instid1(VALU_DEP_4)
	v_dual_add_f32 v33, v33, v29 :: v_dual_add_f32 v20, v24, v20
	v_fmac_f32_e32 v147, 0x3f4c4adb, v42
	v_dual_add_f32 v18, v23, v18 :: v_dual_fmamk_f32 v23, v54, 0x3ee437d1, v186
	s_delay_alu instid0(VALU_DEP_4) | instskip(NEXT) | instid1(VALU_DEP_4)
	v_fmamk_f32 v61, v43, 0x3f6eb680, v135
	v_dual_add_f32 v25, v33, v25 :: v_dual_fmac_f32 v142, 0xbf65296c, v30
	s_delay_alu instid0(VALU_DEP_3) | instskip(SKIP_1) | instid1(VALU_DEP_3)
	v_dual_mul_f32 v53, 0xbf59a7d5, v159 :: v_dual_add_f32 v18, v23, v18
	v_fmamk_f32 v23, v55, 0xbf59a7d5, v188
	v_add_f32_e32 v21, v25, v21
	v_add_f32_e32 v25, v1, v76
	v_mul_f32_e32 v184, 0xbf7ee86f, v160
	v_fmac_f32_e32 v90, 0xbf7ee86f, v34
	v_dual_add_f32 v18, v23, v18 :: v_dual_fmamk_f32 v23, v62, 0xbf1a4643, v179
	v_add_f32_e32 v17, v21, v17
	v_dual_add_f32 v21, v78, v25 :: v_dual_mul_f32 v198, 0xbe8c1d8e, v26
	v_fmac_f32_e32 v94, 0x3f4c4adb, v30
	s_delay_alu instid0(VALU_DEP_4) | instskip(SKIP_3) | instid1(VALU_DEP_2)
	v_add_f32_e32 v18, v23, v18
	v_fmamk_f32 v23, v59, 0x3f3d2fb0, v163
	v_dual_fmamk_f32 v22, v47, 0xbf2c7751, v148 :: v_dual_add_f32 v13, v17, v13
	v_dual_add_f32 v17, v79, v21 :: v_dual_fmamk_f32 v190, v42, 0xbf65296c, v185
	v_dual_add_f32 v18, v23, v18 :: v_dual_add_f32 v19, v22, v19
	v_fmamk_f32 v22, v39, 0x3f65296c, v166
	v_fmamk_f32 v23, v43, 0x3ee437d1, v180
	v_add_f32_e32 v9, v13, v9
	v_dual_add_f32 v13, v80, v17 :: v_dual_fmac_f32 v148, 0x3f2c7751, v47
	s_delay_alu instid0(VALU_DEP_3) | instskip(NEXT) | instid1(VALU_DEP_3)
	v_dual_add_f32 v22, v1, v22 :: v_dual_add_f32 v23, v0, v23
	v_dual_fmamk_f32 v48, v46, 0x3f3d2fb0, v49 :: v_dual_add_f32 v5, v9, v5
	v_fmac_f32_e32 v96, 0x3f2c7751, v42
	s_delay_alu instid0(VALU_DEP_3) | instskip(NEXT) | instid1(VALU_DEP_4)
	v_add_f32_e32 v22, v114, v22
	v_dual_fmamk_f32 v114, v34, 0xbe3c28d5, v132 :: v_dual_add_f32 v23, v164, v23
	v_fmamk_f32 v164, v50, 0xbf7ba420, v173
	v_mul_f32_e32 v151, 0x3f6eb680, v26
	v_fmac_f32_e32 v102, 0x3f763a35, v31
	s_delay_alu instid0(VALU_DEP_4) | instskip(SKIP_3) | instid1(VALU_DEP_3)
	v_add_f32_e32 v22, v114, v22
	v_fmamk_f32 v114, v30, 0xbf763a35, v133
	v_dual_add_f32 v164, v164, v23 :: v_dual_mul_f32 v153, 0xbf59a7d5, v162
	v_dual_add_f32 v16, v20, v16 :: v_dual_fmac_f32 v85, 0xbf4c4adb, v35
	v_add_f32_e32 v22, v114, v22
	v_fmamk_f32 v114, v35, 0xbf2c7751, v134
	v_fmac_f32_e32 v92, 0xbf06c442, v30
	s_delay_alu instid0(VALU_DEP_4) | instskip(SKIP_1) | instid1(VALU_DEP_4)
	v_dual_fmac_f32 v98, 0xbf2c7751, v38 :: v_dual_add_f32 v9, v85, v13
	v_fma_f32 v13, 0xbf59a7d5, v50, -v77
	v_add_f32_e32 v22, v114, v22
	v_fmamk_f32 v114, v38, 0x3eb8f4ab, v151
	v_fmac_f32_e32 v151, 0xbeb8f4ab, v38
	v_dual_add_f32 v5, v5, v69 :: v_dual_fmac_f32 v158, 0xbf7ee86f, v39
	v_fmac_f32_e32 v130, 0xbe3c28d5, v31
	s_delay_alu instid0(VALU_DEP_4) | instskip(SKIP_4) | instid1(VALU_DEP_4)
	v_add_f32_e32 v22, v114, v22
	v_fmamk_f32 v114, v42, 0x3f7ee86f, v152
	v_fmac_f32_e32 v138, 0xbf65296c, v35
	v_fmac_f32_e32 v132, 0x3e3c28d5, v34
	;; [unrolled: 1-line block ×3, first 2 shown]
	v_dual_fmac_f32 v103, 0xbf06c442, v39 :: v_dual_add_f32 v22, v114, v22
	v_fmamk_f32 v114, v47, 0x3f06c442, v153
	v_fmac_f32_e32 v89, 0x3f65296c, v31
	v_fmac_f32_e32 v95, 0xbeb8f4ab, v35
	v_fmac_f32_e32 v101, 0xbe3c28d5, v38
	v_fmac_f32_e32 v105, 0xbf4c4adb, v39
	v_dual_add_f32 v23, v114, v22 :: v_dual_fmamk_f32 v22, v39, 0x3f2c7751, v192
	v_dual_add_f32 v114, v165, v164 :: v_dual_fmamk_f32 v165, v31, 0x3f7ee86f, v193
	v_dual_add_f32 v12, v16, v12 :: v_dual_fmac_f32 v153, 0xbf06c442, v47
	s_delay_alu instid0(VALU_DEP_3) | instskip(SKIP_1) | instid1(VALU_DEP_3)
	v_add_f32_e32 v22, v1, v22
	v_mul_f32_e32 v36, 0xbf763a35, v157
	v_dual_fmac_f32 v57, 0xbf4c4adb, v38 :: v_dual_add_f32 v8, v12, v8
	v_fma_f32 v12, 0xbf7ba420, v43, -v84
	s_delay_alu instid0(VALU_DEP_4) | instskip(SKIP_1) | instid1(VALU_DEP_4)
	v_dual_add_f32 v22, v165, v22 :: v_dual_fmamk_f32 v165, v34, 0x3f4c4adb, v194
	v_mul_f32_e32 v182, 0x3f2c7751, v157
	v_add_f32_e32 v4, v8, v4
	s_delay_alu instid0(VALU_DEP_4) | instskip(NEXT) | instid1(VALU_DEP_4)
	v_dual_add_f32 v8, v82, v9 :: v_dual_add_f32 v9, v0, v12
	v_dual_add_f32 v22, v165, v22 :: v_dual_fmamk_f32 v165, v30, 0x3e3c28d5, v195
	s_delay_alu instid0(VALU_DEP_4) | instskip(SKIP_1) | instid1(VALU_DEP_4)
	v_fmamk_f32 v164, v54, 0x3f3d2fb0, v182
	v_fma_f32 v12, 0x3f6eb680, v46, -v83
	v_add_f32_e32 v8, v81, v8
	s_delay_alu instid0(VALU_DEP_4) | instskip(NEXT) | instid1(VALU_DEP_4)
	v_dual_fmamk_f32 v32, v54, 0xbe8c1d8e, v36 :: v_dual_add_f32 v165, v165, v22
	v_add_f32_e32 v114, v164, v114
	v_fmamk_f32 v164, v55, 0x3f6eb680, v183
	s_delay_alu instid0(VALU_DEP_4) | instskip(NEXT) | instid1(VALU_DEP_4)
	v_dual_add_f32 v12, v12, v9 :: v_dual_add_f32 v9, v87, v8
	v_add_f32_e32 v165, v178, v165
	v_fmamk_f32 v178, v38, 0xbf763a35, v198
	s_delay_alu instid0(VALU_DEP_4) | instskip(SKIP_4) | instid1(VALU_DEP_4)
	v_add_f32_e32 v114, v164, v114
	v_fmamk_f32 v164, v62, 0x3dbcf732, v184
	v_fma_f32 v8, 0xbf59a7d5, v43, -v107
	v_fmac_f32_e32 v192, 0xbf2c7751, v39
	v_dual_add_f32 v178, v178, v165 :: v_dual_mul_f32 v165, 0xbe3c28d5, v154
	v_add_f32_e32 v114, v164, v114
	v_fmamk_f32 v164, v59, 0xbf59a7d5, v177
	v_add_f32_e32 v8, v0, v8
	s_delay_alu instid0(VALU_DEP_4) | instskip(SKIP_1) | instid1(VALU_DEP_4)
	v_dual_add_f32 v190, v190, v178 :: v_dual_fmamk_f32 v201, v51, 0xbf7ba420, v165
	v_mul_f32_e32 v178, 0x3f06c442, v157
	v_add_f32_e32 v22, v164, v114
	v_fmamk_f32 v114, v43, 0x3f3d2fb0, v197
	v_mul_f32_e32 v164, 0xbf4c4adb, v149
	v_fmac_f32_e32 v93, 0x3f7ee86f, v35
	v_fmac_f32_e32 v91, 0xbeb8f4ab, v34
	;; [unrolled: 1-line block ×3, first 2 shown]
	v_add_f32_e32 v187, v0, v114
	v_mul_f32_e32 v114, 0x3f6eb680, v162
	v_fmamk_f32 v191, v50, 0xbf1a4643, v164
	v_fma_f32 v33, 0xbf7ba420, v46, -v170
	v_fmac_f32_e32 v125, 0xbeb8f4ab, v42
	s_delay_alu instid0(VALU_DEP_4) | instskip(SKIP_3) | instid1(VALU_DEP_4)
	v_dual_add_f32 v189, v189, v187 :: v_dual_fmamk_f32 v200, v47, 0xbeb8f4ab, v114
	v_mul_f32_e32 v187, 0x3f6eb680, v27
	v_fmac_f32_e32 v194, 0xbf4c4adb, v34
	v_fmac_f32_e32 v131, 0x3f763a35, v34
	v_add_f32_e32 v191, v191, v189
	s_delay_alu instid0(VALU_DEP_4) | instskip(SKIP_1) | instid1(VALU_DEP_3)
	v_dual_add_f32 v27, v200, v190 :: v_dual_fmamk_f32 v190, v39, 0x3eb8f4ab, v187
	v_mul_f32_e32 v189, 0x3f3d2fb0, v176
	v_dual_fmamk_f32 v200, v54, 0xbf59a7d5, v178 :: v_dual_add_f32 v191, v201, v191
	v_mul_f32_e32 v176, 0x3f763a35, v150
	s_delay_alu instid0(VALU_DEP_3) | instskip(SKIP_1) | instid1(VALU_DEP_3)
	v_dual_add_f32 v201, v1, v190 :: v_dual_fmamk_f32 v202, v31, 0x3f2c7751, v189
	v_mul_f32_e32 v190, 0x3ee437d1, v171
	v_dual_add_f32 v200, v200, v191 :: v_dual_fmamk_f32 v203, v55, 0xbe8c1d8e, v176
	v_mul_f32_e32 v171, 0x3f65296c, v160
	s_delay_alu instid0(VALU_DEP_4) | instskip(NEXT) | instid1(VALU_DEP_4)
	v_add_f32_e32 v201, v202, v201
	v_fmamk_f32 v202, v34, 0x3f65296c, v190
	v_mul_f32_e32 v191, 0x3dbcf732, v168
	s_delay_alu instid0(VALU_DEP_4) | instskip(SKIP_1) | instid1(VALU_DEP_4)
	v_dual_add_f32 v200, v203, v200 :: v_dual_fmamk_f32 v203, v62, 0x3ee437d1, v171
	v_mul_f32_e32 v168, 0x3eb8f4ab, v161
	v_add_f32_e32 v201, v202, v201
	s_delay_alu instid0(VALU_DEP_4)
	v_fmamk_f32 v202, v30, 0x3f7ee86f, v191
	v_fmac_f32_e32 v166, 0xbf65296c, v39
	v_add_f32_e32 v200, v203, v200
	v_fmamk_f32 v203, v59, 0x3f6eb680, v168
	v_fmac_f32_e32 v193, 0xbf7ee86f, v31
	v_dual_add_f32 v201, v202, v201 :: v_dual_fmamk_f32 v202, v35, 0x3f763a35, v169
	s_delay_alu instid0(VALU_DEP_3) | instskip(SKIP_1) | instid1(VALU_DEP_3)
	v_dual_fmac_f32 v155, 0xbf06c442, v38 :: v_dual_add_f32 v26, v203, v200
	v_fmac_f32_e32 v133, 0x3f763a35, v30
	v_dual_fmac_f32 v195, 0xbe3c28d5, v30 :: v_dual_add_f32 v200, v202, v201
	v_fmac_f32_e32 v185, 0x3f65296c, v42
	v_dual_fmac_f32 v191, 0xbf7ee86f, v30 :: v_dual_add_f32 v12, v13, v12
	v_fma_f32 v13, 0x3f3d2fb0, v51, -v63
	s_delay_alu instid0(VALU_DEP_4) | instskip(SKIP_2) | instid1(VALU_DEP_4)
	v_add_f32_e32 v56, v60, v200
	v_fmamk_f32 v60, v42, 0x3f06c442, v53
	v_fma_f32 v63, 0x3dbcf732, v46, -v199
	v_dual_fmac_f32 v169, 0xbf763a35, v35 :: v_dual_add_f32 v12, v13, v12
	v_fma_f32 v13, 0xbf1a4643, v54, -v70
	s_delay_alu instid0(VALU_DEP_4) | instskip(SKIP_2) | instid1(VALU_DEP_4)
	v_add_f32_e32 v52, v60, v56
	v_dual_add_f32 v56, v0, v61 :: v_dual_fmac_f32 v53, 0xbf06c442, v42
	v_fmac_f32_e32 v156, 0xbf4c4adb, v31
	v_add_f32_e32 v12, v13, v12
	s_delay_alu instid0(VALU_DEP_4) | instskip(NEXT) | instid1(VALU_DEP_4)
	v_add_f32_e32 v29, v37, v52
	v_add_f32_e32 v44, v48, v56
	v_fma_f32 v56, 0xbf1a4643, v46, -v181
	v_mul_f32_e32 v60, 0xbf65296c, v149
	v_mul_f32_e32 v48, 0xbf7ee86f, v154
	v_fma_f32 v13, 0x3ee437d1, v55, -v71
	v_fmac_f32_e32 v134, 0x3f2c7751, v35
	v_fmac_f32_e32 v198, 0x3f763a35, v38
	v_fmamk_f32 v45, v50, 0x3ee437d1, v60
	s_delay_alu instid0(VALU_DEP_4) | instskip(SKIP_2) | instid1(VALU_DEP_4)
	v_dual_fmac_f32 v187, 0xbeb8f4ab, v39 :: v_dual_add_f32 v12, v13, v12
	v_fma_f32 v13, 0xbe8c1d8e, v62, -v86
	v_fmac_f32_e32 v189, 0xbf2c7751, v31
	v_dual_add_f32 v41, v45, v44 :: v_dual_fmamk_f32 v44, v51, 0x3dbcf732, v48
	v_fma_f32 v45, 0xbf59a7d5, v55, -v188
	s_delay_alu instid0(VALU_DEP_4)
	v_add_f32_e32 v12, v13, v12
	v_fma_f32 v13, 0x3dbcf732, v59, -v88
	v_fma_f32 v31, 0x3f3d2fb0, v46, -v49
	v_add_f32_e32 v37, v44, v41
	v_mul_f32_e32 v41, 0xbf4c4adb, v150
	v_mul_f32_e32 v44, 0xbe3c28d5, v161
	v_fma_f32 v30, 0x3dbcf732, v51, -v48
	s_delay_alu instid0(VALU_DEP_4) | instskip(NEXT) | instid1(VALU_DEP_4)
	v_add_f32_e32 v28, v32, v37
	v_fmamk_f32 v32, v55, 0xbf1a4643, v41
	v_mul_f32_e32 v37, 0xbf06c442, v160
	s_delay_alu instid0(VALU_DEP_2) | instskip(NEXT) | instid1(VALU_DEP_2)
	v_dual_fmamk_f32 v17, v59, 0xbf7ba420, v44 :: v_dual_add_f32 v24, v32, v28
	v_fmamk_f32 v20, v62, 0xbf59a7d5, v37
	v_fma_f32 v32, 0xbf59a7d5, v46, -v146
	s_delay_alu instid0(VALU_DEP_2) | instskip(SKIP_2) | instid1(VALU_DEP_3)
	v_add_f32_e32 v16, v20, v24
	v_fma_f32 v20, 0xbf7ba420, v55, -v129
	v_fma_f32 v24, 0xbe8c1d8e, v46, -v121
	v_add_f32_e32 v28, v17, v16
	v_add_f32_e32 v16, v1, v103
	v_fma_f32 v17, 0x3ee437d1, v46, -v108
	s_delay_alu instid0(VALU_DEP_2) | instskip(NEXT) | instid1(VALU_DEP_2)
	v_add_f32_e32 v16, v89, v16
	v_add_f32_e32 v8, v17, v8
	v_fma_f32 v17, 0x3dbcf732, v50, -v109
	s_delay_alu instid0(VALU_DEP_3) | instskip(NEXT) | instid1(VALU_DEP_2)
	v_add_f32_e32 v16, v90, v16
	v_add_f32_e32 v8, v17, v8
	v_fma_f32 v17, 0xbf1a4643, v51, -v112
	s_delay_alu instid0(VALU_DEP_3) | instskip(NEXT) | instid1(VALU_DEP_2)
	;; [unrolled: 4-line block ×3, first 2 shown]
	v_add_f32_e32 v16, v95, v16
	v_add_f32_e32 v17, v17, v8
	s_delay_alu instid0(VALU_DEP_2) | instskip(SKIP_1) | instid1(VALU_DEP_2)
	v_add_f32_e32 v16, v101, v16
	v_add_f32_e32 v8, v13, v12
	;; [unrolled: 1-line block ×3, first 2 shown]
	s_delay_alu instid0(VALU_DEP_4) | instskip(SKIP_2) | instid1(VALU_DEP_4)
	v_add_f32_e32 v16, v20, v17
	v_fma_f32 v17, 0x3f3d2fb0, v62, -v117
	v_add_f32_e32 v20, v1, v105
	v_add_f32_e32 v13, v97, v12
	v_fma_f32 v12, 0xbf1a4643, v43, -v119
	s_delay_alu instid0(VALU_DEP_4) | instskip(SKIP_2) | instid1(VALU_DEP_4)
	v_add_f32_e32 v16, v17, v16
	v_fma_f32 v17, 0xbe8c1d8e, v59, -v104
	v_add_f32_e32 v20, v102, v20
	v_dual_fmac_f32 v196, 0x3f06c442, v35 :: v_dual_add_f32 v21, v0, v12
	v_mul_u32_u24_e32 v35, 0x88, v58
	s_delay_alu instid0(VALU_DEP_4) | instskip(NEXT) | instid1(VALU_DEP_4)
	v_add_f32_e32 v12, v17, v16
	v_add_f32_e32 v16, v91, v20
	v_fma_f32 v20, 0x3f6eb680, v50, -v110
	v_add_f32_e32 v17, v24, v21
	v_add_f32_e32 v21, v1, v139
	v_fma_f32 v24, 0xbf7ba420, v62, -v124
	v_add_f32_e32 v16, v92, v16
	s_delay_alu instid0(VALU_DEP_4) | instskip(SKIP_1) | instid1(VALU_DEP_3)
	v_dual_fmac_f32 v114, 0x3eb8f4ab, v47 :: v_dual_add_f32 v17, v20, v17
	v_fma_f32 v20, 0xbf59a7d5, v51, -v111
	v_dual_add_f32 v21, v140, v21 :: v_dual_add_f32 v16, v93, v16
	v_add3_u32 v35, 0, v35, v74
	s_delay_alu instid0(VALU_DEP_3) | instskip(SKIP_1) | instid1(VALU_DEP_4)
	v_add_f32_e32 v17, v20, v17
	v_fma_f32 v20, 0x3dbcf732, v54, -v122
	v_dual_add_f32 v21, v141, v21 :: v_dual_add_f32 v16, v98, v16
	s_delay_alu instid0(VALU_DEP_2) | instskip(SKIP_1) | instid1(VALU_DEP_3)
	v_add_f32_e32 v17, v20, v17
	v_fma_f32 v20, 0x3f3d2fb0, v55, -v123
	v_dual_add_f32 v21, v142, v21 :: v_dual_add_f32 v16, v99, v16
	v_fmac_f32_e32 v190, 0xbf65296c, v34
	s_delay_alu instid0(VALU_DEP_3) | instskip(NEXT) | instid1(VALU_DEP_3)
	v_add_f32_e32 v20, v20, v17
	v_add_f32_e32 v21, v143, v21
	s_delay_alu instid0(VALU_DEP_4) | instskip(SKIP_1) | instid1(VALU_DEP_4)
	v_add_f32_e32 v17, v100, v16
	v_fma_f32 v16, 0xbe8c1d8e, v43, -v144
	v_add_f32_e32 v20, v24, v20
	v_fma_f32 v24, 0x3ee437d1, v59, -v113
	v_add_f32_e32 v21, v145, v21
	s_delay_alu instid0(VALU_DEP_4) | instskip(NEXT) | instid1(VALU_DEP_3)
	v_add_f32_e32 v25, v0, v16
	v_add_f32_e32 v16, v24, v20
	s_delay_alu instid0(VALU_DEP_3) | instskip(NEXT) | instid1(VALU_DEP_3)
	v_add_f32_e32 v20, v125, v21
	v_add_f32_e32 v24, v32, v25
	v_fma_f32 v25, 0x3f3d2fb0, v50, -v127
	s_delay_alu instid0(VALU_DEP_3) | instskip(SKIP_1) | instid1(VALU_DEP_3)
	v_dual_add_f32 v32, v1, v158 :: v_dual_add_f32 v21, v126, v20
	v_fma_f32 v20, 0x3dbcf732, v43, -v167
	v_add_f32_e32 v24, v25, v24
	v_fma_f32 v25, 0x3ee437d1, v51, -v106
	s_delay_alu instid0(VALU_DEP_4) | instskip(NEXT) | instid1(VALU_DEP_4)
	v_add_f32_e32 v32, v130, v32
	v_add_f32_e32 v20, v0, v20
	s_delay_alu instid0(VALU_DEP_3) | instskip(SKIP_1) | instid1(VALU_DEP_4)
	v_add_f32_e32 v24, v25, v24
	v_fma_f32 v25, 0xbf7ba420, v54, -v115
	v_add_f32_e32 v32, v131, v32
	s_delay_alu instid0(VALU_DEP_4) | instskip(SKIP_1) | instid1(VALU_DEP_4)
	v_add_f32_e32 v20, v33, v20
	v_fma_f32 v33, 0xbe8c1d8e, v50, -v172
	v_add_f32_e32 v24, v25, v24
	v_fma_f32 v25, 0x3dbcf732, v55, -v116
	v_add_f32_e32 v32, v137, v32
	s_delay_alu instid0(VALU_DEP_4) | instskip(SKIP_1) | instid1(VALU_DEP_4)
	v_add_f32_e32 v20, v33, v20
	v_fma_f32 v33, 0x3f6eb680, v51, -v175
	;; [unrolled: 6-line block ×3, first 2 shown]
	v_add_f32_e32 v24, v25, v24
	v_fma_f32 v25, 0xbf1a4643, v59, -v120
	v_add_f32_e32 v32, v155, v32
	s_delay_alu instid0(VALU_DEP_4) | instskip(NEXT) | instid1(VALU_DEP_3)
	v_add_f32_e32 v33, v33, v20
	v_add_f32_e32 v20, v25, v24
	s_delay_alu instid0(VALU_DEP_3) | instskip(NEXT) | instid1(VALU_DEP_3)
	v_add_f32_e32 v24, v147, v32
	v_add_f32_e32 v32, v45, v33
	v_fma_f32 v33, 0xbf1a4643, v62, -v179
	v_add_f32_e32 v45, v1, v166
	s_delay_alu instid0(VALU_DEP_4) | instskip(SKIP_1) | instid1(VALU_DEP_4)
	v_add_f32_e32 v25, v148, v24
	v_fma_f32 v24, 0x3ee437d1, v43, -v180
	v_add_f32_e32 v32, v33, v32
	v_fma_f32 v33, 0x3f3d2fb0, v59, -v163
	v_dual_add_f32 v45, v156, v45 :: v_dual_fmac_f32 v40, 0xbe3c28d5, v47
	s_delay_alu instid0(VALU_DEP_4) | instskip(NEXT) | instid1(VALU_DEP_3)
	v_add_f32_e32 v52, v0, v24
	v_add_f32_e32 v24, v33, v32
	s_delay_alu instid0(VALU_DEP_3) | instskip(SKIP_1) | instid1(VALU_DEP_4)
	v_add_f32_e32 v32, v132, v45
	v_fma_f32 v45, 0xbf7ba420, v50, -v173
	v_add_f32_e32 v33, v56, v52
	v_add_f32_e32 v52, v1, v192
	v_fma_f32 v56, 0x3dbcf732, v62, -v184
	v_add_f32_e32 v32, v133, v32
	v_add_f32_e32 v1, v1, v187
	;; [unrolled: 1-line block ×3, first 2 shown]
	v_fma_f32 v45, 0xbe8c1d8e, v51, -v174
	v_add_f32_e32 v52, v193, v52
	v_add_f32_e32 v32, v134, v32
	v_dual_add_f32 v4, v4, v68 :: v_dual_add_f32 v1, v189, v1
	s_delay_alu instid0(VALU_DEP_4) | instskip(SKIP_2) | instid1(VALU_DEP_4)
	v_add_f32_e32 v33, v45, v33
	v_fma_f32 v45, 0x3f3d2fb0, v54, -v182
	v_add_f32_e32 v52, v194, v52
	v_dual_add_f32 v32, v151, v32 :: v_dual_add_f32 v1, v190, v1
	s_delay_alu instid0(VALU_DEP_3) | instskip(SKIP_1) | instid1(VALU_DEP_4)
	v_add_f32_e32 v33, v45, v33
	v_fma_f32 v45, 0x3f6eb680, v55, -v183
	v_add_f32_e32 v52, v195, v52
	s_delay_alu instid0(VALU_DEP_4) | instskip(NEXT) | instid1(VALU_DEP_2)
	v_dual_add_f32 v32, v152, v32 :: v_dual_add_f32 v1, v191, v1
	v_dual_add_f32 v45, v45, v33 :: v_dual_add_f32 v52, v196, v52
	s_delay_alu instid0(VALU_DEP_2) | instskip(SKIP_2) | instid1(VALU_DEP_4)
	v_add_f32_e32 v33, v153, v32
	v_fma_f32 v32, 0x3f3d2fb0, v43, -v197
	v_fma_f32 v43, 0x3f6eb680, v43, -v135
	v_add_f32_e32 v45, v56, v45
	v_fma_f32 v56, 0xbf59a7d5, v59, -v177
	v_add_f32_e32 v52, v198, v52
	v_add_f32_e32 v61, v0, v32
	v_dual_add_f32 v0, v0, v43 :: v_dual_add_f32 v1, v169, v1
	s_delay_alu instid0(VALU_DEP_3) | instskip(NEXT) | instid1(VALU_DEP_3)
	v_dual_add_f32 v32, v56, v45 :: v_dual_add_f32 v39, v185, v52
	v_add_f32_e32 v45, v63, v61
	v_fma_f32 v52, 0xbf1a4643, v50, -v164
	s_delay_alu instid0(VALU_DEP_4) | instskip(SKIP_2) | instid1(VALU_DEP_4)
	v_add_f32_e32 v0, v31, v0
	v_fma_f32 v31, 0x3ee437d1, v50, -v60
	v_add_f32_e32 v1, v57, v1
	v_add_f32_e32 v43, v52, v45
	v_fma_f32 v45, 0xbf7ba420, v51, -v165
	s_delay_alu instid0(VALU_DEP_4) | instskip(NEXT) | instid1(VALU_DEP_2)
	v_add_f32_e32 v0, v31, v0
	v_add_f32_e32 v34, v45, v43
	v_fma_f32 v43, 0xbf59a7d5, v54, -v178
	s_delay_alu instid0(VALU_DEP_3) | instskip(SKIP_2) | instid1(VALU_DEP_4)
	v_add_f32_e32 v0, v30, v0
	v_fma_f32 v30, 0xbe8c1d8e, v54, -v36
	v_dual_add_f32 v36, v53, v1 :: v_dual_add_f32 v1, v114, v39
	v_add_f32_e32 v31, v43, v34
	v_fma_f32 v34, 0xbe8c1d8e, v55, -v176
	s_delay_alu instid0(VALU_DEP_4) | instskip(SKIP_1) | instid1(VALU_DEP_3)
	v_add_f32_e32 v0, v30, v0
	v_fma_f32 v30, 0xbf1a4643, v55, -v41
	v_add_f32_e32 v31, v34, v31
	v_fma_f32 v34, 0x3ee437d1, v62, -v171
	s_delay_alu instid0(VALU_DEP_3) | instskip(SKIP_2) | instid1(VALU_DEP_4)
	v_add_f32_e32 v0, v30, v0
	v_fma_f32 v30, 0xbf59a7d5, v62, -v37
	v_fma_f32 v37, 0xbf7ba420, v59, -v44
	v_add_f32_e32 v31, v34, v31
	v_fma_f32 v34, 0x3f6eb680, v59, -v168
	s_delay_alu instid0(VALU_DEP_4) | instskip(NEXT) | instid1(VALU_DEP_2)
	v_add_f32_e32 v30, v30, v0
	v_dual_add_f32 v0, v34, v31 :: v_dual_add_f32 v31, v40, v36
	s_delay_alu instid0(VALU_DEP_2)
	v_add_f32_e32 v30, v37, v30
	ds_store_2addr_b64 v35, v[4:5], v[28:29] offset1:1
	ds_store_2addr_b64 v35, v[26:27], v[22:23] offset0:2 offset1:3
	ds_store_2addr_b64 v35, v[18:19], v[14:15] offset0:4 offset1:5
	;; [unrolled: 1-line block ×7, first 2 shown]
	ds_store_b64 v35, v[30:31] offset:128
.LBB0_18:
	s_wait_alu 0xfffe
	s_or_b32 exec_lo, exec_lo, s1
	v_dual_mov_b32 v1, 0 :: v_dual_lshlrev_b32 v0, 1, v64
	global_wb scope:SCOPE_SE
	s_wait_dscnt 0x0
	s_barrier_signal -1
	s_barrier_wait -1
	global_inv scope:SCOPE_SE
	v_lshlrev_b64_e32 v[2:3], 3, v[0:1]
	v_add_nc_u16 v0, v64, 34
	v_add_nc_u16 v6, v64, 51
	;; [unrolled: 1-line block ×5, first 2 shown]
	v_add_co_u32 v2, s0, s4, v2
	s_wait_alu 0xf1ff
	v_add_co_ci_u32_e64 v3, s0, s5, v3, s0
	v_add_nc_u16 v14, v64, 0x77
	v_mul_u32_u24_e32 v92, 7, v64
	global_load_b128 v[2:5], v[2:3], off
	v_and_b32_e32 v9, 0xff, v0
	v_and_b32_e32 v11, 0xff, v6
	v_and_b32_e32 v12, 0xff, v7
	v_and_b32_e32 v13, 0xff, v8
	v_and_b32_e32 v15, 0xff, v10
	v_mul_lo_u16 v9, 0xf1, v9
	v_mul_lo_u16 v11, 0xf1, v11
	;; [unrolled: 1-line block ×3, first 2 shown]
	v_and_b32_e32 v16, 0xff, v14
	v_mul_lo_u16 v13, 0xf1, v13
	v_lshrrev_b16 v9, 12, v9
	v_mul_lo_u16 v15, 0xf1, v15
	v_lshrrev_b16 v11, 12, v11
	v_lshrrev_b16 v12, 12, v12
	v_mul_lo_u16 v16, 0xf1, v16
	v_mul_lo_u16 v9, v9, 17
	v_lshrrev_b16 v13, 12, v13
	v_mul_lo_u16 v11, v11, 17
	v_mul_lo_u16 v12, v12, 17
	s_delay_alu instid0(VALU_DEP_4)
	v_sub_nc_u16 v0, v0, v9
	v_lshrrev_b16 v9, 12, v15
	v_lshrrev_b16 v15, 12, v16
	v_sub_nc_u16 v6, v6, v11
	v_sub_nc_u16 v7, v7, v12
	v_and_b32_e32 v86, 0xff, v0
	v_mul_lo_u16 v0, v13, 17
	v_mul_lo_u16 v11, v9, 17
	;; [unrolled: 1-line block ×3, first 2 shown]
	v_and_b32_e32 v87, 0xff, v6
	v_and_b32_e32 v88, 0xff, v7
	v_sub_nc_u16 v0, v8, v0
	v_sub_nc_u16 v16, v10, v11
	;; [unrolled: 1-line block ×3, first 2 shown]
	v_lshlrev_b32_e32 v6, 4, v86
	v_lshlrev_b32_e32 v12, 4, v87
	v_and_b32_e32 v89, 0xff, v0
	v_lshlrev_b32_e32 v0, 4, v88
	v_and_b32_e32 v90, 0xff, v16
	v_and_b32_e32 v91, 0xff, v18
	s_clause 0x1
	global_load_b128 v[6:9], v6, s[4:5]
	global_load_b128 v[10:13], v12, s[4:5]
	v_lshlrev_b32_e32 v19, 4, v89
	global_load_b128 v[14:17], v0, s[4:5]
	v_lshlrev_b32_e32 v0, 4, v90
	v_lshlrev_b32_e32 v26, 4, v91
	s_clause 0x2
	global_load_b128 v[18:21], v19, s[4:5]
	global_load_b128 v[22:25], v0, s[4:5]
	global_load_b128 v[26:29], v26, s[4:5]
	ds_load_2addr_b64 v[30:33], v65 offset0:119 offset1:136
	ds_load_2addr_b64 v[34:37], v65 offset0:17 offset1:34
	;; [unrolled: 1-line block ×9, first 2 shown]
	s_wait_loadcnt_dscnt 0x606
	v_mul_f32_e32 v99, v39, v3
	v_mul_f32_e32 v95, v33, v3
	;; [unrolled: 1-line block ×3, first 2 shown]
	s_wait_dscnt 0x5
	v_dual_mul_f32 v100, v43, v5 :: v_dual_mul_f32 v3, v38, v3
	v_dual_fmac_f32 v99, v38, v2 :: v_dual_add_nc_u32 v0, 0x400, v65
	ds_load_2addr_b64 v[76:79], v75 offset0:101 offset1:118
	ds_load_b64 v[62:63], v73
	ds_load_b64 v[84:85], v65 offset:3128
	ds_load_2addr_b64 v[80:83], v0 offset0:127 offset1:144
	v_fmac_f32_e32 v95, v32, v2
	v_fma_f32 v32, v33, v2, -v96
	v_fmac_f32_e32 v100, v42, v4
	v_fma_f32 v2, v39, v2, -v3
	global_wb scope:SCOPE_SE
	s_wait_loadcnt_dscnt 0x0
	s_barrier_signal -1
	s_barrier_wait -1
	global_inv scope:SCOPE_SE
	v_add_f32_e32 v3, v62, v95
	v_dual_add_f32 v39, v63, v32 :: v_dual_mul_f32 v98, v82, v5
	v_mul_f32_e32 v97, v83, v5
	v_dual_mul_f32 v5, v42, v5 :: v_dual_lshlrev_b32 v88, 3, v88
	s_delay_alu instid0(VALU_DEP_3) | instskip(NEXT) | instid1(VALU_DEP_3)
	v_fma_f32 v33, v83, v4, -v98
	v_fmac_f32_e32 v97, v82, v4
	s_delay_alu instid0(VALU_DEP_3)
	v_fma_f32 v5, v43, v4, -v5
	v_add_f32_e32 v82, v99, v100
	v_lshlrev_b32_e32 v92, 3, v92
	v_sub_f32_e32 v38, v32, v33
	v_add_f32_e32 v32, v32, v33
	v_dual_sub_f32 v83, v2, v5 :: v_dual_lshlrev_b32 v90, 3, v90
	v_dual_sub_f32 v98, v99, v100 :: v_dual_lshlrev_b32 v89, 3, v89
	v_dual_add_f32 v96, v2, v5 :: v_dual_lshlrev_b32 v91, 3, v91
	s_delay_alu instid0(VALU_DEP_4) | instskip(NEXT) | instid1(VALU_DEP_4)
	v_dual_add_f32 v4, v95, v97 :: v_dual_fmac_f32 v63, -0.5, v32
	v_add3_u32 v90, 0, v90, v74
	v_lshlrev_b32_e32 v86, 3, v86
	v_dual_sub_f32 v42, v95, v97 :: v_dual_lshlrev_b32 v87, 3, v87
	v_add3_u32 v89, 0, v89, v74
	v_add3_u32 v91, 0, v91, v74
	v_add_f32_e32 v43, v34, v99
	v_add_f32_e32 v95, v35, v2
	v_fma_f32 v62, -0.5, v4, v62
	v_fma_f32 v32, -0.5, v82, v34
	v_dual_add_f32 v2, v3, v97 :: v_dual_add_nc_u32 v93, 0x800, v90
	v_add_f32_e32 v3, v39, v33
	v_fma_f32 v33, -0.5, v96, v35
	v_add3_u32 v86, 0, v86, v74
	v_add3_u32 v87, 0, v87, v74
	;; [unrolled: 1-line block ×3, first 2 shown]
	v_add_nc_u32_e32 v88, 0x400, v89
	v_dual_add_f32 v5, v95, v5 :: v_dual_add_nc_u32 v94, 0x800, v91
	v_dual_add_f32 v4, v43, v100 :: v_dual_fmamk_f32 v35, v42, 0x3f5db3d7, v63
	v_dual_fmamk_f32 v34, v38, 0xbf5db3d7, v62 :: v_dual_fmac_f32 v63, 0xbf5db3d7, v42
	v_dual_fmac_f32 v62, 0x3f5db3d7, v38 :: v_dual_fmamk_f32 v39, v98, 0x3f5db3d7, v33
	v_dual_fmamk_f32 v38, v83, 0xbf5db3d7, v32 :: v_dual_fmac_f32 v33, 0xbf5db3d7, v98
	v_dual_fmac_f32 v32, 0x3f5db3d7, v83 :: v_dual_mul_f32 v43, v45, v9
	v_dual_mul_f32 v42, v41, v7 :: v_dual_mul_f32 v9, v44, v9
	v_mul_f32_e32 v7, v40, v7
	v_mul_f32_e32 v82, v51, v11
	v_dual_mul_f32 v11, v50, v11 :: v_dual_mul_f32 v96, v57, v17
	s_delay_alu instid0(VALU_DEP_4)
	v_dual_mul_f32 v83, v55, v13 :: v_dual_fmac_f32 v42, v40, v6
	v_mul_f32_e32 v13, v54, v13
	v_dual_mul_f32 v95, v53, v15 :: v_dual_mul_f32 v100, v79, v25
	v_dual_mul_f32 v15, v52, v15 :: v_dual_mul_f32 v98, v77, v21
	v_dual_mul_f32 v17, v56, v17 :: v_dual_fmac_f32 v82, v50, v10
	v_dual_mul_f32 v97, v69, v19 :: v_dual_fmac_f32 v96, v56, v16
	v_dual_mul_f32 v19, v68, v19 :: v_dual_mul_f32 v102, v85, v29
	ds_store_2addr_b64 v65, v[2:3], v[34:35] offset1:17
	ds_store_2addr_b64 v65, v[62:63], v[4:5] offset0:34 offset1:51
	ds_store_2addr_b64 v65, v[38:39], v[32:33] offset0:68 offset1:85
	v_fma_f32 v2, v41, v6, -v7
	v_fma_f32 v3, v45, v8, -v9
	v_mul_f32_e32 v29, v84, v29
	v_fma_f32 v6, v53, v14, -v15
	v_fma_f32 v9, v57, v16, -v17
	v_dual_mul_f32 v21, v76, v21 :: v_dual_fmac_f32 v100, v78, v24
	v_dual_mul_f32 v99, v71, v23 :: v_dual_fmac_f32 v98, v76, v20
	;; [unrolled: 1-line block ×3, first 2 shown]
	v_mul_f32_e32 v25, v78, v25
	v_mul_f32_e32 v101, v81, v27
	;; [unrolled: 1-line block ×3, first 2 shown]
	v_fmac_f32_e32 v43, v44, v8
	v_fma_f32 v4, v51, v10, -v11
	v_fma_f32 v5, v55, v12, -v13
	v_fmac_f32_e32 v83, v54, v12
	v_add_f32_e32 v16, v2, v3
	v_fma_f32 v17, v85, v28, -v29
	v_dual_sub_f32 v28, v6, v9 :: v_dual_fmac_f32 v95, v52, v14
	v_dual_fmac_f32 v97, v68, v18 :: v_dual_add_f32 v32, v6, v9
	v_fma_f32 v7, v69, v18, -v19
	v_fma_f32 v11, v77, v20, -v21
	v_fmac_f32_e32 v99, v70, v22
	v_fma_f32 v8, v71, v22, -v23
	v_add_f32_e32 v12, v36, v42
	v_fma_f32 v15, v79, v24, -v25
	v_dual_add_f32 v24, v4, v5 :: v_dual_add_f32 v13, v42, v43
	v_add_f32_e32 v44, v99, v100
	v_add_f32_e32 v14, v37, v2
	v_fma_f32 v10, v81, v26, -v27
	v_add_f32_e32 v18, v46, v82
	v_dual_fmac_f32 v101, v80, v26 :: v_dual_add_f32 v34, v58, v97
	v_dual_sub_f32 v22, v4, v5 :: v_dual_add_f32 v21, v82, v83
	v_sub_f32_e32 v52, v99, v100
	v_dual_sub_f32 v20, v42, v43 :: v_dual_add_f32 v27, v95, v96
	v_dual_add_f32 v42, v60, v99 :: v_dual_add_f32 v35, v97, v98
	v_add_f32_e32 v40, v7, v11
	v_dual_sub_f32 v19, v2, v3 :: v_dual_add_f32 v50, v61, v8
	v_dual_sub_f32 v25, v82, v83 :: v_dual_add_f32 v54, v101, v102
	v_add_f32_e32 v51, v8, v15
	v_fma_f32 v36, -0.5, v13, v36
	v_add_f32_e32 v53, v30, v101
	v_add_f32_e32 v57, v10, v17
	v_fmac_f32_e32 v37, -0.5, v16
	v_dual_add_f32 v23, v47, v4 :: v_dual_add_f32 v26, v48, v95
	v_dual_add_f32 v29, v49, v6 :: v_dual_sub_f32 v38, v7, v11
	v_add_f32_e32 v39, v59, v7
	v_fma_f32 v6, -0.5, v21, v46
	v_fma_f32 v7, -0.5, v24, v47
	v_dual_sub_f32 v33, v95, v96 :: v_dual_sub_f32 v62, v101, v102
	v_fma_f32 v48, -0.5, v27, v48
	v_fmac_f32_e32 v49, -0.5, v32
	v_dual_sub_f32 v41, v97, v98 :: v_dual_add_f32 v2, v12, v43
	v_fma_f32 v12, -0.5, v35, v58
	v_fma_f32 v13, -0.5, v40, v59
	v_dual_sub_f32 v45, v8, v15 :: v_dual_add_f32 v56, v31, v10
	v_add_f32_e32 v4, v18, v83
	v_fma_f32 v60, -0.5, v44, v60
	v_fma_f32 v30, -0.5, v54, v30
	v_dual_fmamk_f32 v18, v19, 0xbf5db3d7, v36 :: v_dual_sub_f32 v55, v10, v17
	v_add_f32_e32 v16, v53, v102
	v_dual_add_f32 v10, v34, v98 :: v_dual_fmac_f32 v61, -0.5, v51
	v_fmamk_f32 v24, v38, 0xbf5db3d7, v12
	v_dual_fmac_f32 v36, 0x3f5db3d7, v19 :: v_dual_fmac_f32 v31, -0.5, v57
	v_add_f32_e32 v3, v14, v3
	v_fmamk_f32 v19, v20, 0x3f5db3d7, v37
	v_dual_add_f32 v5, v23, v5 :: v_dual_add_f32 v14, v42, v100
	v_add_f32_e32 v9, v29, v9
	v_dual_fmac_f32 v37, 0xbf5db3d7, v20 :: v_dual_fmamk_f32 v20, v22, 0xbf5db3d7, v6
	v_dual_fmamk_f32 v21, v25, 0x3f5db3d7, v7 :: v_dual_add_f32 v8, v26, v96
	v_fmac_f32_e32 v6, 0x3f5db3d7, v22
	v_fmamk_f32 v22, v28, 0xbf5db3d7, v48
	v_fmamk_f32 v23, v33, 0x3f5db3d7, v49
	v_dual_add_f32 v11, v39, v11 :: v_dual_fmac_f32 v48, 0x3f5db3d7, v28
	v_fmac_f32_e32 v7, 0xbf5db3d7, v25
	v_fmamk_f32 v25, v41, 0x3f5db3d7, v13
	v_dual_add_f32 v15, v50, v15 :: v_dual_fmac_f32 v12, 0x3f5db3d7, v38
	v_dual_add_f32 v17, v56, v17 :: v_dual_fmamk_f32 v26, v45, 0xbf5db3d7, v60
	v_fmac_f32_e32 v13, 0xbf5db3d7, v41
	v_fmamk_f32 v27, v52, 0x3f5db3d7, v61
	v_fmamk_f32 v28, v55, 0xbf5db3d7, v30
	v_dual_fmac_f32 v30, 0x3f5db3d7, v55 :: v_dual_fmamk_f32 v29, v62, 0x3f5db3d7, v31
	v_fmac_f32_e32 v31, 0xbf5db3d7, v62
	v_fmac_f32_e32 v49, 0xbf5db3d7, v33
	;; [unrolled: 1-line block ×4, first 2 shown]
	ds_store_2addr_b64 v86, v[2:3], v[18:19] offset0:102 offset1:119
	ds_store_2addr_b64 v87, v[4:5], v[20:21] offset0:153 offset1:170
	;; [unrolled: 1-line block ×4, first 2 shown]
	ds_store_b64 v86, v[36:37] offset:1088
	ds_store_b64 v87, v[6:7] offset:1496
	;; [unrolled: 1-line block ×4, first 2 shown]
	ds_store_2addr_b64 v93, v[14:15], v[26:27] offset0:50 offset1:67
	ds_store_2addr_b64 v94, v[16:17], v[28:29] offset0:101 offset1:118
	ds_store_b64 v90, v[60:61] offset:2720
	ds_store_b64 v91, v[30:31] offset:3128
	global_wb scope:SCOPE_SE
	s_wait_dscnt 0x0
	s_barrier_signal -1
	s_barrier_wait -1
	global_inv scope:SCOPE_SE
	s_clause 0xb
	global_load_b128 v[2:5], v92, s[4:5] offset:272
	global_load_b128 v[6:9], v92, s[4:5] offset:288
	global_load_b128 v[10:13], v92, s[4:5] offset:304
	global_load_b64 v[62:63], v92, s[4:5] offset:320
	global_load_b128 v[14:17], v92, s[4:5] offset:1224
	global_load_b128 v[18:21], v92, s[4:5] offset:1240
	global_load_b128 v[22:25], v92, s[4:5] offset:1256
	global_load_b64 v[88:89], v92, s[4:5] offset:1272
	;; [unrolled: 4-line block ×3, first 2 shown]
	ds_load_2addr_b64 v[38:41], v65 offset0:51 offset1:68
	ds_load_2addr_b64 v[42:45], v65 offset0:85 offset1:102
	;; [unrolled: 1-line block ×3, first 2 shown]
	ds_load_2addr_b32 v[92:93], v0 offset0:152 offset1:153
	ds_load_2addr_b64 v[50:53], v0 offset0:127 offset1:144
	ds_load_2addr_b64 v[54:57], v75 offset0:33 offset1:50
	;; [unrolled: 1-line block ×7, first 2 shown]
	ds_load_b64 v[73:74], v73
	ds_load_b64 v[94:95], v65 offset:1496
	ds_load_b64 v[96:97], v65 offset:3128
	global_wb scope:SCOPE_SE
	s_wait_loadcnt_dscnt 0x0
	s_barrier_signal -1
	s_barrier_wait -1
	global_inv scope:SCOPE_SE
	v_mul_f32_e32 v0, v3, v39
	v_mul_f32_e32 v100, v93, v9
	v_dual_mul_f32 v98, v5, v45 :: v_dual_mul_f32 v3, v3, v38
	v_mul_f32_e32 v5, v5, v44
	s_delay_alu instid0(VALU_DEP_4) | instskip(NEXT) | instid1(VALU_DEP_4)
	v_dual_mul_f32 v99, v7, v47 :: v_dual_fmac_f32 v0, v2, v38
	v_dual_mul_f32 v7, v7, v46 :: v_dual_fmac_f32 v100, v8, v92
	v_mul_f32_e32 v102, v57, v13
	v_mul_f32_e32 v104, v41, v15
	;; [unrolled: 1-line block ×4, first 2 shown]
	v_dual_mul_f32 v103, v59, v63 :: v_dual_mul_f32 v110, v61, v89
	v_dual_mul_f32 v63, v58, v63 :: v_dual_mul_f32 v112, v79, v29
	v_mul_f32_e32 v13, v56, v13
	v_dual_mul_f32 v101, v51, v11 :: v_dual_fmac_f32 v102, v56, v12
	v_dual_mul_f32 v114, v83, v33 :: v_dual_mul_f32 v15, v40, v15
	v_mul_f32_e32 v116, v87, v37
	v_dual_mul_f32 v105, v77, v17 :: v_dual_fmac_f32 v98, v4, v44
	v_fma_f32 v2, v2, v39, -v3
	v_fma_f32 v3, v4, v45, -v5
	s_delay_alu instid0(VALU_DEP_4)
	v_fmac_f32_e32 v116, v86, v36
	v_fma_f32 v4, v6, v47, -v7
	v_fmac_f32_e32 v104, v40, v14
	v_fma_f32 v5, v93, v8, -v9
	;; [unrolled: 2-line block ×3, first 2 shown]
	v_mul_f32_e32 v109, v85, v25
	v_dual_mul_f32 v25, v84, v25 :: v_dual_fmac_f32 v112, v78, v28
	v_fma_f32 v7, v57, v12, -v13
	v_dual_mul_f32 v17, v76, v17 :: v_dual_mul_f32 v106, v49, v19
	v_mul_f32_e32 v11, v50, v11
	v_fmac_f32_e32 v105, v76, v16
	v_fmac_f32_e32 v114, v82, v32
	v_fma_f32 v9, v41, v14, -v15
	v_fma_f32 v14, v85, v24, -v25
	v_sub_f32_e32 v5, v74, v5
	v_dual_sub_f32 v7, v3, v7 :: v_dual_sub_f32 v8, v4, v8
	v_fmac_f32_e32 v109, v84, v24
	v_dual_mul_f32 v23, v52, v23 :: v_dual_sub_f32 v24, v98, v102
	v_mul_f32_e32 v29, v78, v29
	v_fmac_f32_e32 v99, v6, v46
	v_fmac_f32_e32 v106, v48, v18
	v_fma_f32 v6, v51, v10, -v11
	v_fma_f32 v3, v3, 2.0, -v7
	v_fmac_f32_e32 v101, v50, v10
	v_fma_f32 v10, v77, v16, -v17
	v_sub_f32_e32 v40, v5, v24
	v_fma_f32 v17, v79, v28, -v29
	v_sub_f32_e32 v28, v105, v109
	v_fma_f32 v13, v53, v22, -v23
	v_mul_f32_e32 v117, v97, v91
	v_dual_mul_f32 v19, v48, v19 :: v_dual_sub_f32 v6, v2, v6
	s_delay_alu instid0(VALU_DEP_3) | instskip(SKIP_1) | instid1(VALU_DEP_4)
	v_dual_fmac_f32 v108, v52, v22 :: v_dual_sub_f32 v13, v9, v13
	v_mul_f32_e32 v91, v96, v91
	v_fmac_f32_e32 v117, v96, v90
	v_mul_f32_e32 v89, v60, v89
	v_fma_f32 v11, v49, v18, -v19
	v_sub_f32_e32 v23, v73, v100
	v_fma_f32 v22, v97, v90, -v91
	v_mul_f32_e32 v113, v95, v31
	v_mul_f32_e32 v31, v94, v31
	v_sub_f32_e32 v29, v104, v108
	v_add_f32_e32 v39, v23, v7
	v_fma_f32 v7, v105, 2.0, -v28
	v_fmac_f32_e32 v103, v58, v62
	v_fma_f32 v18, v95, v30, -v31
	v_mul_f32_e32 v107, v81, v21
	v_mul_f32_e32 v21, v80, v21
	v_sub_f32_e32 v31, v70, v114
	s_delay_alu instid0(VALU_DEP_4)
	v_dual_mul_f32 v111, v43, v27 :: v_dual_sub_f32 v22, v18, v22
	v_fmac_f32_e32 v113, v94, v30
	v_sub_f32_e32 v30, v106, v110
	v_fma_f32 v15, v61, v88, -v89
	v_fma_f32 v12, v81, v20, -v21
	v_fma_f32 v18, v18, 2.0, -v22
	v_mul_f32_e32 v27, v42, v27
	s_delay_alu instid0(VALU_DEP_4) | instskip(NEXT) | instid1(VALU_DEP_4)
	v_dual_sub_f32 v14, v10, v14 :: v_dual_sub_f32 v15, v11, v15
	v_dual_mul_f32 v37, v86, v37 :: v_dual_sub_f32 v12, v69, v12
	s_delay_alu instid0(VALU_DEP_3) | instskip(SKIP_2) | instid1(VALU_DEP_4)
	v_fma_f32 v16, v43, v26, -v27
	v_fma_f32 v38, v2, 2.0, -v6
	v_fma_f32 v4, v4, 2.0, -v8
	v_fma_f32 v21, v87, v36, -v37
	v_fma_f32 v37, v98, 2.0, -v24
	v_sub_f32_e32 v46, v12, v28
	v_fma_f32 v51, v23, 2.0, -v39
	v_fma_f32 v44, v9, 2.0, -v13
	v_sub_f32_e32 v21, v17, v21
	v_fma_f32 v9, v106, 2.0, -v30
	v_fma_f32 v57, v12, 2.0, -v46
	s_delay_alu instid0(VALU_DEP_3) | instskip(SKIP_1) | instid1(VALU_DEP_1)
	v_add_f32_e32 v49, v31, v21
	v_sub_f32_e32 v25, v0, v101
	v_dual_mul_f32 v33, v82, v33 :: v_dual_add_f32 v24, v25, v8
	s_delay_alu instid0(VALU_DEP_1)
	v_fma_f32 v19, v83, v32, -v33
	v_dual_sub_f32 v32, v112, v116 :: v_dual_fmac_f32 v111, v42, v26
	v_sub_f32_e32 v26, v99, v103
	v_mul_f32_e32 v115, v55, v35
	v_mul_f32_e32 v35, v54, v35
	v_fmac_f32_e32 v107, v80, v20
	v_sub_f32_e32 v19, v71, v19
	v_fma_f32 v0, v0, 2.0, -v25
	v_fma_f32 v8, v10, 2.0, -v14
	v_fma_f32 v20, v55, v34, -v35
	v_fma_f32 v35, v73, 2.0, -v23
	v_sub_f32_e32 v50, v19, v32
	v_fma_f32 v42, v69, 2.0, -v12
	v_fma_f32 v25, v25, 2.0, -v24
	v_sub_f32_e32 v20, v16, v20
	v_fma_f32 v48, v71, 2.0, -v19
	s_delay_alu instid0(VALU_DEP_3) | instskip(NEXT) | instid1(VALU_DEP_3)
	v_dual_sub_f32 v55, v42, v8 :: v_dual_fmamk_f32 v8, v25, 0xbf3504f3, v51
	v_fma_f32 v16, v16, 2.0, -v20
	s_delay_alu instid0(VALU_DEP_1)
	v_sub_f32_e32 v18, v16, v18
	v_fma_f32 v10, v11, 2.0, -v15
	v_fma_f32 v11, v112, 2.0, -v32
	v_sub_f32_e32 v32, v35, v37
	v_fma_f32 v2, v99, 2.0, -v26
	v_sub_f32_e32 v26, v6, v26
	v_dual_sub_f32 v37, v38, v4 :: v_dual_sub_f32 v58, v44, v10
	s_delay_alu instid0(VALU_DEP_3) | instskip(SKIP_1) | instid1(VALU_DEP_4)
	v_sub_f32_e32 v23, v0, v2
	v_fmamk_f32 v2, v24, 0x3f3504f3, v39
	v_fma_f32 v53, v6, 2.0, -v26
	s_delay_alu instid0(VALU_DEP_4) | instskip(SKIP_1) | instid1(VALU_DEP_4)
	v_dual_fmac_f32 v115, v54, v34 :: v_dual_add_f32 v10, v32, v37
	v_sub_f32_e32 v34, v113, v117
	v_fmac_f32_e32 v2, 0x3f3504f3, v26
	s_delay_alu instid0(VALU_DEP_4) | instskip(NEXT) | instid1(VALU_DEP_4)
	v_dual_fmac_f32 v8, 0x3f3504f3, v53 :: v_dual_sub_f32 v27, v68, v107
	v_sub_f32_e32 v33, v111, v115
	v_fma_f32 v36, v74, 2.0, -v5
	v_fma_f32 v52, v5, 2.0, -v40
	;; [unrolled: 1-line block ×4, first 2 shown]
	v_add_f32_e32 v45, v27, v14
	v_fma_f32 v14, v17, 2.0, -v21
	v_add_f32_e32 v21, v33, v22
	v_sub_f32_e32 v22, v20, v34
	v_sub_f32_e32 v54, v41, v7
	v_fma_f32 v56, v27, 2.0, -v45
	s_delay_alu instid0(VALU_DEP_4) | instskip(NEXT) | instid1(VALU_DEP_4)
	v_dual_sub_f32 v61, v48, v14 :: v_dual_fmamk_f32 v6, v21, 0x3f3504f3, v49
	v_fma_f32 v69, v20, 2.0, -v22
	s_delay_alu instid0(VALU_DEP_4)
	v_add_f32_e32 v14, v54, v58
	v_add_f32_e32 v28, v29, v15
	v_fma_f32 v43, v104, 2.0, -v29
	v_fma_f32 v15, v113, 2.0, -v34
	v_fmac_f32_e32 v6, 0x3f3504f3, v22
	v_fma_f32 v17, v111, 2.0, -v33
	v_fma_f32 v29, v29, 2.0, -v28
	v_fmamk_f32 v4, v28, 0x3f3504f3, v45
	v_sub_f32_e32 v30, v13, v30
	v_sub_f32_e32 v34, v36, v3
	v_fma_f32 v68, v33, 2.0, -v21
	v_dual_fmamk_f32 v12, v29, 0xbf3504f3, v56 :: v_dual_sub_f32 v27, v43, v9
	s_delay_alu instid0(VALU_DEP_4)
	v_fma_f32 v59, v13, 2.0, -v30
	v_fmac_f32_e32 v4, 0x3f3504f3, v30
	v_fma_f32 v63, v19, 2.0, -v50
	v_sub_f32_e32 v19, v17, v15
	v_fmamk_f32 v3, v26, 0x3f3504f3, v40
	v_fmac_f32_e32 v12, 0x3f3504f3, v59
	v_fma_f32 v47, v70, 2.0, -v31
	v_fma_f32 v62, v31, 2.0, -v49
	v_fmamk_f32 v5, v30, 0x3f3504f3, v46
	v_fmamk_f32 v7, v22, 0x3f3504f3, v50
	v_fma_f32 v71, v36, 2.0, -v34
	v_sub_f32_e32 v60, v47, v11
	v_fma_f32 v36, v16, 2.0, -v18
	v_fmamk_f32 v16, v68, 0xbf3504f3, v62
	v_fma_f32 v70, v35, 2.0, -v32
	v_fma_f32 v31, v38, 2.0, -v37
	v_fmamk_f32 v9, v53, 0xbf3504f3, v52
	s_delay_alu instid0(VALU_DEP_4)
	v_dual_sub_f32 v11, v34, v23 :: v_dual_fmac_f32 v16, 0x3f3504f3, v69
	v_fma_f32 v38, v41, 2.0, -v54
	v_fma_f32 v41, v42, 2.0, -v55
	;; [unrolled: 1-line block ×4, first 2 shown]
	v_fmamk_f32 v13, v59, 0xbf3504f3, v57
	v_sub_f32_e32 v15, v55, v27
	v_fma_f32 v42, v47, 2.0, -v60
	v_fma_f32 v43, v48, 2.0, -v61
	;; [unrolled: 1-line block ×3, first 2 shown]
	v_fmamk_f32 v17, v69, 0xbf3504f3, v63
	v_dual_fmac_f32 v3, 0xbf3504f3, v24 :: v_dual_add_f32 v18, v60, v18
	v_sub_f32_e32 v19, v61, v19
	v_fmac_f32_e32 v5, 0xbf3504f3, v28
	v_dual_fmac_f32 v7, 0xbf3504f3, v21 :: v_dual_sub_f32 v20, v70, v0
	v_sub_f32_e32 v21, v71, v31
	v_fmac_f32_e32 v9, 0xbf3504f3, v25
	v_fma_f32 v22, v32, 2.0, -v10
	v_fma_f32 v23, v34, 2.0, -v11
	v_dual_sub_f32 v26, v38, v26 :: v_dual_sub_f32 v27, v41, v33
	v_fmac_f32_e32 v13, 0xbf3504f3, v29
	v_fma_f32 v28, v54, 2.0, -v14
	v_fma_f32 v29, v55, 2.0, -v15
	v_dual_sub_f32 v32, v42, v35 :: v_dual_sub_f32 v33, v43, v36
	v_fmac_f32_e32 v17, 0xbf3504f3, v68
	v_fma_f32 v24, v39, 2.0, -v2
	v_fma_f32 v25, v40, 2.0, -v3
	;; [unrolled: 1-line block ×8, first 2 shown]
	ds_store_2addr_b64 v75, v[10:11], v[14:15] offset0:50 offset1:67
	ds_store_2addr_b64 v75, v[18:19], v[2:3] offset0:84 offset1:101
	;; [unrolled: 1-line block ×3, first 2 shown]
	v_fma_f32 v2, v70, 2.0, -v20
	v_fma_f32 v3, v71, 2.0, -v21
	;; [unrolled: 1-line block ×12, first 2 shown]
	ds_store_2addr_b64 v65, v[22:23], v[28:29] offset0:102 offset1:119
	ds_store_2addr_b64 v65, v[20:21], v[26:27] offset0:204 offset1:221
	;; [unrolled: 1-line block ×6, first 2 shown]
	ds_store_2addr_b64 v65, v[2:3], v[6:7] offset1:17
	ds_store_2addr_b64 v65, v[14:15], v[4:5] offset0:34 offset1:51
	ds_store_2addr_b64 v65, v[10:11], v[18:19] offset0:68 offset1:85
	global_wb scope:SCOPE_SE
	s_wait_dscnt 0x0
	s_barrier_signal -1
	s_barrier_wait -1
	global_inv scope:SCOPE_SE
	s_and_saveexec_b32 s0, vcc_lo
	s_cbranch_execz .LBB0_20
; %bb.19:
	v_dual_mov_b32 v65, v1 :: v_dual_add_nc_u32 v0, 17, v64
	v_lshl_add_u32 v20, v64, 3, v72
	v_add_co_u32 v32, vcc_lo, s8, v66
	s_delay_alu instid0(VALU_DEP_3)
	v_lshlrev_b64_e32 v[6:7], 3, v[64:65]
	s_wait_alu 0xfffd
	v_add_co_ci_u32_e32 v33, vcc_lo, s9, v67, vcc_lo
	ds_load_2addr_b64 v[2:5], v20 offset1:17
	v_lshlrev_b64_e32 v[10:11], 3, v[0:1]
	v_add_nc_u32_e32 v0, 34, v64
	v_add_co_u32 v12, vcc_lo, v32, v6
	s_wait_alu 0xfffd
	v_add_co_ci_u32_e32 v13, vcc_lo, v33, v7, vcc_lo
	ds_load_2addr_b64 v[6:9], v20 offset0:34 offset1:51
	v_lshlrev_b64_e32 v[14:15], 3, v[0:1]
	v_add_nc_u32_e32 v0, 51, v64
	v_add_co_u32 v10, vcc_lo, v32, v10
	s_wait_alu 0xfffd
	v_add_co_ci_u32_e32 v11, vcc_lo, v33, v11, vcc_lo
	s_delay_alu instid0(VALU_DEP_3) | instskip(SKIP_4) | instid1(VALU_DEP_4)
	v_lshlrev_b64_e32 v[16:17], 3, v[0:1]
	v_add_nc_u32_e32 v0, 0x44, v64
	v_add_co_u32 v14, vcc_lo, v32, v14
	s_wait_alu 0xfffd
	v_add_co_ci_u32_e32 v15, vcc_lo, v33, v15, vcc_lo
	v_add_co_u32 v16, vcc_lo, v32, v16
	v_lshlrev_b64_e32 v[18:19], 3, v[0:1]
	v_add_nc_u32_e32 v0, 0x55, v64
	s_wait_alu 0xfffd
	v_add_co_ci_u32_e32 v17, vcc_lo, v33, v17, vcc_lo
	s_wait_dscnt 0x1
	s_clause 0x1
	global_store_b64 v[12:13], v[2:3], off
	global_store_b64 v[10:11], v[4:5], off
	s_wait_dscnt 0x0
	s_clause 0x1
	global_store_b64 v[14:15], v[6:7], off
	global_store_b64 v[16:17], v[8:9], off
	ds_load_2addr_b64 v[2:5], v20 offset0:68 offset1:85
	v_lshlrev_b64_e32 v[10:11], 3, v[0:1]
	v_add_nc_u32_e32 v0, 0x66, v64
	ds_load_2addr_b64 v[6:9], v20 offset0:102 offset1:119
	v_add_co_u32 v12, vcc_lo, v32, v18
	s_wait_alu 0xfffd
	v_add_co_ci_u32_e32 v13, vcc_lo, v33, v19, vcc_lo
	v_lshlrev_b64_e32 v[14:15], 3, v[0:1]
	v_add_nc_u32_e32 v0, 0x77, v64
	v_add_co_u32 v10, vcc_lo, v32, v10
	s_wait_alu 0xfffd
	v_add_co_ci_u32_e32 v11, vcc_lo, v33, v11, vcc_lo
	s_delay_alu instid0(VALU_DEP_3) | instskip(SKIP_4) | instid1(VALU_DEP_4)
	v_lshlrev_b64_e32 v[16:17], 3, v[0:1]
	v_add_nc_u32_e32 v0, 0x88, v64
	v_add_co_u32 v14, vcc_lo, v32, v14
	s_wait_alu 0xfffd
	v_add_co_ci_u32_e32 v15, vcc_lo, v33, v15, vcc_lo
	v_add_co_u32 v16, vcc_lo, v32, v16
	v_lshlrev_b64_e32 v[18:19], 3, v[0:1]
	v_add_nc_u32_e32 v0, 0x99, v64
	s_wait_alu 0xfffd
	v_add_co_ci_u32_e32 v17, vcc_lo, v33, v17, vcc_lo
	s_wait_dscnt 0x1
	s_clause 0x1
	global_store_b64 v[12:13], v[2:3], off
	global_store_b64 v[10:11], v[4:5], off
	s_wait_dscnt 0x0
	s_clause 0x1
	global_store_b64 v[14:15], v[6:7], off
	global_store_b64 v[16:17], v[8:9], off
	ds_load_2addr_b64 v[2:5], v20 offset0:136 offset1:153
	v_lshlrev_b64_e32 v[10:11], 3, v[0:1]
	v_add_nc_u32_e32 v0, 0xaa, v64
	ds_load_2addr_b64 v[6:9], v20 offset0:170 offset1:187
	v_add_co_u32 v12, vcc_lo, v32, v18
	s_wait_alu 0xfffd
	v_add_co_ci_u32_e32 v13, vcc_lo, v33, v19, vcc_lo
	v_lshlrev_b64_e32 v[14:15], 3, v[0:1]
	v_add_nc_u32_e32 v0, 0xbb, v64
	v_add_co_u32 v10, vcc_lo, v32, v10
	s_wait_alu 0xfffd
	v_add_co_ci_u32_e32 v11, vcc_lo, v33, v11, vcc_lo
	s_delay_alu instid0(VALU_DEP_3) | instskip(SKIP_4) | instid1(VALU_DEP_4)
	v_lshlrev_b64_e32 v[16:17], 3, v[0:1]
	v_add_nc_u32_e32 v0, 0xcc, v64
	v_add_co_u32 v14, vcc_lo, v32, v14
	s_wait_alu 0xfffd
	v_add_co_ci_u32_e32 v15, vcc_lo, v33, v15, vcc_lo
	v_add_co_u32 v16, vcc_lo, v32, v16
	v_lshlrev_b64_e32 v[18:19], 3, v[0:1]
	v_add_nc_u32_e32 v0, 0xdd, v64
	s_wait_alu 0xfffd
	v_add_co_ci_u32_e32 v17, vcc_lo, v33, v17, vcc_lo
	s_wait_dscnt 0x1
	s_clause 0x1
	global_store_b64 v[12:13], v[2:3], off
	global_store_b64 v[10:11], v[4:5], off
	s_wait_dscnt 0x0
	s_clause 0x1
	global_store_b64 v[14:15], v[6:7], off
	global_store_b64 v[16:17], v[8:9], off
	ds_load_2addr_b64 v[2:5], v20 offset0:204 offset1:221
	v_lshlrev_b64_e32 v[10:11], 3, v[0:1]
	v_add_nc_u32_e32 v0, 0xee, v64
	ds_load_2addr_b64 v[6:9], v20 offset0:238 offset1:255
	v_add_co_u32 v12, vcc_lo, v32, v18
	s_wait_alu 0xfffd
	v_add_co_ci_u32_e32 v13, vcc_lo, v33, v19, vcc_lo
	v_lshlrev_b64_e32 v[14:15], 3, v[0:1]
	v_add_nc_u32_e32 v0, 0xff, v64
	v_add_co_u32 v10, vcc_lo, v32, v10
	s_wait_alu 0xfffd
	v_add_co_ci_u32_e32 v11, vcc_lo, v33, v11, vcc_lo
	s_delay_alu instid0(VALU_DEP_3) | instskip(SKIP_4) | instid1(VALU_DEP_3)
	v_lshlrev_b64_e32 v[16:17], 3, v[0:1]
	v_add_nc_u32_e32 v0, 0x110, v64
	v_add_co_u32 v14, vcc_lo, v32, v14
	s_wait_alu 0xfffd
	v_add_co_ci_u32_e32 v15, vcc_lo, v33, v15, vcc_lo
	v_lshlrev_b64_e32 v[18:19], 3, v[0:1]
	v_add_nc_u32_e32 v0, 0x121, v64
	v_add_co_u32 v16, vcc_lo, v32, v16
	s_wait_alu 0xfffd
	v_add_co_ci_u32_e32 v17, vcc_lo, v33, v17, vcc_lo
	s_wait_dscnt 0x1
	s_clause 0x1
	global_store_b64 v[12:13], v[2:3], off
	global_store_b64 v[10:11], v[4:5], off
	s_wait_dscnt 0x0
	s_clause 0x1
	global_store_b64 v[14:15], v[6:7], off
	global_store_b64 v[16:17], v[8:9], off
	v_lshlrev_b64_e32 v[6:7], 3, v[0:1]
	v_add_nc_u32_e32 v0, 0x132, v64
	v_add_co_u32 v18, vcc_lo, v32, v18
	s_wait_alu 0xfffd
	v_add_co_ci_u32_e32 v19, vcc_lo, v33, v19, vcc_lo
	s_delay_alu instid0(VALU_DEP_3)
	v_lshlrev_b64_e32 v[10:11], 3, v[0:1]
	v_add_nc_u32_e32 v0, 0x143, v64
	v_add_nc_u32_e32 v30, 0x800, v20
	v_add_co_u32 v20, vcc_lo, v32, v6
	s_wait_alu 0xfffd
	v_add_co_ci_u32_e32 v21, vcc_lo, v33, v7, vcc_lo
	v_lshlrev_b64_e32 v[12:13], 3, v[0:1]
	v_add_nc_u32_e32 v0, 0x154, v64
	v_add_co_u32 v22, vcc_lo, v32, v10
	ds_load_2addr_b64 v[2:5], v30 offset0:16 offset1:33
	s_wait_alu 0xfffd
	v_add_co_ci_u32_e32 v23, vcc_lo, v33, v11, vcc_lo
	v_lshlrev_b64_e32 v[14:15], 3, v[0:1]
	v_add_nc_u32_e32 v0, 0x165, v64
	v_add_co_u32 v24, vcc_lo, v32, v12
	ds_load_2addr_b64 v[6:9], v30 offset0:50 offset1:67
	s_wait_alu 0xfffd
	v_add_co_ci_u32_e32 v25, vcc_lo, v33, v13, vcc_lo
	v_lshlrev_b64_e32 v[26:27], 3, v[0:1]
	v_add_nc_u32_e32 v0, 0x176, v64
	ds_load_2addr_b64 v[10:13], v30 offset0:84 offset1:101
	v_add_co_u32 v28, vcc_lo, v32, v14
	s_wait_alu 0xfffd
	v_add_co_ci_u32_e32 v29, vcc_lo, v33, v15, vcc_lo
	ds_load_2addr_b64 v[14:17], v30 offset0:118 offset1:135
	v_lshlrev_b64_e32 v[30:31], 3, v[0:1]
	v_add_nc_u32_e32 v0, 0x187, v64
	v_add_co_u32 v26, vcc_lo, v32, v26
	s_wait_alu 0xfffd
	v_add_co_ci_u32_e32 v27, vcc_lo, v33, v27, vcc_lo
	s_delay_alu instid0(VALU_DEP_3) | instskip(SKIP_3) | instid1(VALU_DEP_3)
	v_lshlrev_b64_e32 v[0:1], 3, v[0:1]
	v_add_co_u32 v30, vcc_lo, v32, v30
	s_wait_alu 0xfffd
	v_add_co_ci_u32_e32 v31, vcc_lo, v33, v31, vcc_lo
	v_add_co_u32 v0, vcc_lo, v32, v0
	s_wait_alu 0xfffd
	v_add_co_ci_u32_e32 v1, vcc_lo, v33, v1, vcc_lo
	s_wait_dscnt 0x3
	s_clause 0x1
	global_store_b64 v[18:19], v[2:3], off
	global_store_b64 v[20:21], v[4:5], off
	s_wait_dscnt 0x2
	s_clause 0x1
	global_store_b64 v[22:23], v[6:7], off
	global_store_b64 v[24:25], v[8:9], off
	;; [unrolled: 4-line block ×4, first 2 shown]
.LBB0_20:
	s_nop 0
	s_sendmsg sendmsg(MSG_DEALLOC_VGPRS)
	s_endpgm
	.section	.rodata,"a",@progbits
	.p2align	6, 0x0
	.amdhsa_kernel fft_rtc_back_len408_factors_17_3_8_wgs_51_tpt_17_halfLds_sp_ip_CI_unitstride_sbrr_C2R_dirReg
		.amdhsa_group_segment_fixed_size 0
		.amdhsa_private_segment_fixed_size 0
		.amdhsa_kernarg_size 88
		.amdhsa_user_sgpr_count 2
		.amdhsa_user_sgpr_dispatch_ptr 0
		.amdhsa_user_sgpr_queue_ptr 0
		.amdhsa_user_sgpr_kernarg_segment_ptr 1
		.amdhsa_user_sgpr_dispatch_id 0
		.amdhsa_user_sgpr_private_segment_size 0
		.amdhsa_wavefront_size32 1
		.amdhsa_uses_dynamic_stack 0
		.amdhsa_enable_private_segment 0
		.amdhsa_system_sgpr_workgroup_id_x 1
		.amdhsa_system_sgpr_workgroup_id_y 0
		.amdhsa_system_sgpr_workgroup_id_z 0
		.amdhsa_system_sgpr_workgroup_info 0
		.amdhsa_system_vgpr_workitem_id 0
		.amdhsa_next_free_vgpr 216
		.amdhsa_next_free_sgpr 32
		.amdhsa_reserve_vcc 1
		.amdhsa_float_round_mode_32 0
		.amdhsa_float_round_mode_16_64 0
		.amdhsa_float_denorm_mode_32 3
		.amdhsa_float_denorm_mode_16_64 3
		.amdhsa_fp16_overflow 0
		.amdhsa_workgroup_processor_mode 1
		.amdhsa_memory_ordered 1
		.amdhsa_forward_progress 0
		.amdhsa_round_robin_scheduling 0
		.amdhsa_exception_fp_ieee_invalid_op 0
		.amdhsa_exception_fp_denorm_src 0
		.amdhsa_exception_fp_ieee_div_zero 0
		.amdhsa_exception_fp_ieee_overflow 0
		.amdhsa_exception_fp_ieee_underflow 0
		.amdhsa_exception_fp_ieee_inexact 0
		.amdhsa_exception_int_div_zero 0
	.end_amdhsa_kernel
	.text
.Lfunc_end0:
	.size	fft_rtc_back_len408_factors_17_3_8_wgs_51_tpt_17_halfLds_sp_ip_CI_unitstride_sbrr_C2R_dirReg, .Lfunc_end0-fft_rtc_back_len408_factors_17_3_8_wgs_51_tpt_17_halfLds_sp_ip_CI_unitstride_sbrr_C2R_dirReg
                                        ; -- End function
	.section	.AMDGPU.csdata,"",@progbits
; Kernel info:
; codeLenInByte = 18952
; NumSgprs: 34
; NumVgprs: 216
; ScratchSize: 0
; MemoryBound: 0
; FloatMode: 240
; IeeeMode: 1
; LDSByteSize: 0 bytes/workgroup (compile time only)
; SGPRBlocks: 4
; VGPRBlocks: 26
; NumSGPRsForWavesPerEU: 34
; NumVGPRsForWavesPerEU: 216
; Occupancy: 7
; WaveLimiterHint : 1
; COMPUTE_PGM_RSRC2:SCRATCH_EN: 0
; COMPUTE_PGM_RSRC2:USER_SGPR: 2
; COMPUTE_PGM_RSRC2:TRAP_HANDLER: 0
; COMPUTE_PGM_RSRC2:TGID_X_EN: 1
; COMPUTE_PGM_RSRC2:TGID_Y_EN: 0
; COMPUTE_PGM_RSRC2:TGID_Z_EN: 0
; COMPUTE_PGM_RSRC2:TIDIG_COMP_CNT: 0
	.text
	.p2alignl 7, 3214868480
	.fill 96, 4, 3214868480
	.type	__hip_cuid_1ec9af36c30d50ec,@object ; @__hip_cuid_1ec9af36c30d50ec
	.section	.bss,"aw",@nobits
	.globl	__hip_cuid_1ec9af36c30d50ec
__hip_cuid_1ec9af36c30d50ec:
	.byte	0                               ; 0x0
	.size	__hip_cuid_1ec9af36c30d50ec, 1

	.ident	"AMD clang version 19.0.0git (https://github.com/RadeonOpenCompute/llvm-project roc-6.4.0 25133 c7fe45cf4b819c5991fe208aaa96edf142730f1d)"
	.section	".note.GNU-stack","",@progbits
	.addrsig
	.addrsig_sym __hip_cuid_1ec9af36c30d50ec
	.amdgpu_metadata
---
amdhsa.kernels:
  - .args:
      - .actual_access:  read_only
        .address_space:  global
        .offset:         0
        .size:           8
        .value_kind:     global_buffer
      - .offset:         8
        .size:           8
        .value_kind:     by_value
      - .actual_access:  read_only
        .address_space:  global
        .offset:         16
        .size:           8
        .value_kind:     global_buffer
      - .actual_access:  read_only
        .address_space:  global
        .offset:         24
        .size:           8
        .value_kind:     global_buffer
      - .offset:         32
        .size:           8
        .value_kind:     by_value
      - .actual_access:  read_only
        .address_space:  global
        .offset:         40
        .size:           8
        .value_kind:     global_buffer
      - .actual_access:  read_only
        .address_space:  global
        .offset:         48
        .size:           8
        .value_kind:     global_buffer
      - .offset:         56
        .size:           4
        .value_kind:     by_value
      - .actual_access:  read_only
        .address_space:  global
        .offset:         64
        .size:           8
        .value_kind:     global_buffer
      - .actual_access:  read_only
        .address_space:  global
        .offset:         72
        .size:           8
        .value_kind:     global_buffer
      - .address_space:  global
        .offset:         80
        .size:           8
        .value_kind:     global_buffer
    .group_segment_fixed_size: 0
    .kernarg_segment_align: 8
    .kernarg_segment_size: 88
    .language:       OpenCL C
    .language_version:
      - 2
      - 0
    .max_flat_workgroup_size: 51
    .name:           fft_rtc_back_len408_factors_17_3_8_wgs_51_tpt_17_halfLds_sp_ip_CI_unitstride_sbrr_C2R_dirReg
    .private_segment_fixed_size: 0
    .sgpr_count:     34
    .sgpr_spill_count: 0
    .symbol:         fft_rtc_back_len408_factors_17_3_8_wgs_51_tpt_17_halfLds_sp_ip_CI_unitstride_sbrr_C2R_dirReg.kd
    .uniform_work_group_size: 1
    .uses_dynamic_stack: false
    .vgpr_count:     216
    .vgpr_spill_count: 0
    .wavefront_size: 32
    .workgroup_processor_mode: 1
amdhsa.target:   amdgcn-amd-amdhsa--gfx1201
amdhsa.version:
  - 1
  - 2
...

	.end_amdgpu_metadata
